;; amdgpu-corpus repo=ROCm/AMDMIGraphX kind=compiled arch=gfx906 opt=O3
	.text
	.amdgcn_target "amdgcn-amd-amdhsa--gfx906"
	.amdhsa_code_object_version 6
	.p2align	2                               ; -- Begin function _ZNK8migraphx13basic_printerIZNS_4coutEvEUlT_E_ElsEPKc
	.type	_ZNK8migraphx13basic_printerIZNS_4coutEvEUlT_E_ElsEPKc,@function
_ZNK8migraphx13basic_printerIZNS_4coutEvEUlT_E_ElsEPKc: ; @_ZNK8migraphx13basic_printerIZNS_4coutEvEUlT_E_ElsEPKc
; %bb.0:
	s_waitcnt vmcnt(0) expcnt(0) lgkmcnt(0)
	s_load_dwordx2 s[6:7], s[8:9], 0x50
	v_mbcnt_lo_u32_b32 v2, -1, 0
	v_mbcnt_hi_u32_b32 v35, -1, v2
	v_readfirstlane_b32 s4, v35
	v_mov_b32_e32 v7, 0
	v_mov_b32_e32 v8, 0
	v_cmp_eq_u32_e64 s[4:5], s4, v35
	s_and_saveexec_b64 s[8:9], s[4:5]
	s_cbranch_execz .LBB0_6
; %bb.1:
	v_mov_b32_e32 v2, 0
	s_waitcnt lgkmcnt(0)
	global_load_dwordx2 v[5:6], v2, s[6:7] offset:24 glc
	s_waitcnt vmcnt(0)
	buffer_wbinvl1_vol
	global_load_dwordx2 v[3:4], v2, s[6:7] offset:40
	global_load_dwordx2 v[7:8], v2, s[6:7]
	s_waitcnt vmcnt(1)
	v_and_b32_e32 v3, v3, v5
	v_and_b32_e32 v4, v4, v6
	v_mul_lo_u32 v4, v4, 24
	v_mul_hi_u32 v9, v3, 24
	v_mul_lo_u32 v3, v3, 24
	v_add_u32_e32 v4, v9, v4
	s_waitcnt vmcnt(0)
	v_add_co_u32_e32 v3, vcc, v7, v3
	v_addc_co_u32_e32 v4, vcc, v8, v4, vcc
	global_load_dwordx2 v[3:4], v[3:4], off glc
	s_waitcnt vmcnt(0)
	global_atomic_cmpswap_x2 v[7:8], v2, v[3:6], s[6:7] offset:24 glc
	s_waitcnt vmcnt(0)
	buffer_wbinvl1_vol
	v_cmp_ne_u64_e32 vcc, v[7:8], v[5:6]
	s_and_saveexec_b64 s[10:11], vcc
	s_cbranch_execz .LBB0_5
; %bb.2:
	s_mov_b64 s[12:13], 0
.LBB0_3:                                ; =>This Inner Loop Header: Depth=1
	s_sleep 1
	global_load_dwordx2 v[3:4], v2, s[6:7] offset:40
	global_load_dwordx2 v[9:10], v2, s[6:7]
	v_mov_b32_e32 v5, v7
	v_mov_b32_e32 v6, v8
	s_waitcnt vmcnt(1)
	v_and_b32_e32 v3, v3, v5
	s_waitcnt vmcnt(0)
	v_mad_u64_u32 v[7:8], s[14:15], v3, 24, v[9:10]
	v_and_b32_e32 v4, v4, v6
	v_mov_b32_e32 v3, v8
	v_mad_u64_u32 v[3:4], s[14:15], v4, 24, v[3:4]
	v_mov_b32_e32 v8, v3
	global_load_dwordx2 v[3:4], v[7:8], off glc
	s_waitcnt vmcnt(0)
	global_atomic_cmpswap_x2 v[7:8], v2, v[3:6], s[6:7] offset:24 glc
	s_waitcnt vmcnt(0)
	buffer_wbinvl1_vol
	v_cmp_eq_u64_e32 vcc, v[7:8], v[5:6]
	s_or_b64 s[12:13], vcc, s[12:13]
	s_andn2_b64 exec, exec, s[12:13]
	s_cbranch_execnz .LBB0_3
; %bb.4:
	s_or_b64 exec, exec, s[12:13]
.LBB0_5:
	s_or_b64 exec, exec, s[10:11]
.LBB0_6:
	s_or_b64 exec, exec, s[8:9]
	v_mov_b32_e32 v6, 0
	s_waitcnt lgkmcnt(0)
	global_load_dwordx2 v[9:10], v6, s[6:7] offset:40
	global_load_dwordx4 v[2:5], v6, s[6:7]
	v_readfirstlane_b32 s8, v7
	v_readfirstlane_b32 s9, v8
	s_mov_b64 s[10:11], exec
	s_waitcnt vmcnt(1)
	v_readfirstlane_b32 s12, v9
	v_readfirstlane_b32 s13, v10
	s_and_b64 s[12:13], s[8:9], s[12:13]
	s_mul_i32 s14, s13, 24
	s_mul_hi_u32 s15, s12, 24
	s_mul_i32 s16, s12, 24
	s_add_i32 s14, s15, s14
	v_mov_b32_e32 v7, s14
	s_waitcnt vmcnt(0)
	v_add_co_u32_e32 v9, vcc, s16, v2
	v_addc_co_u32_e32 v10, vcc, v3, v7, vcc
	s_and_saveexec_b64 s[14:15], s[4:5]
	s_cbranch_execz .LBB0_8
; %bb.7:
	v_mov_b32_e32 v12, s11
	v_mov_b32_e32 v11, s10
	;; [unrolled: 1-line block ×4, first 2 shown]
	global_store_dwordx4 v[9:10], v[11:14], off offset:8
.LBB0_8:
	s_or_b64 exec, exec, s[14:15]
	s_lshl_b64 s[10:11], s[12:13], 12
	v_mov_b32_e32 v7, s11
	v_add_co_u32_e32 v4, vcc, s10, v4
	v_addc_co_u32_e32 v13, vcc, v5, v7, vcc
	s_mov_b32 s12, 0
	v_lshlrev_b32_e32 v34, 6, v35
	v_mov_b32_e32 v5, 33
	v_mov_b32_e32 v7, v6
	;; [unrolled: 1-line block ×3, first 2 shown]
	v_readfirstlane_b32 s10, v4
	v_readfirstlane_b32 s11, v13
	v_add_co_u32_e32 v11, vcc, v4, v34
	s_mov_b32 s13, s12
	s_mov_b32 s14, s12
	s_mov_b32 s15, s12
	s_nop 0
	global_store_dwordx4 v34, v[5:8], s[10:11]
	v_mov_b32_e32 v4, s12
	v_addc_co_u32_e32 v12, vcc, 0, v13, vcc
	v_mov_b32_e32 v5, s13
	v_mov_b32_e32 v6, s14
	;; [unrolled: 1-line block ×3, first 2 shown]
	global_store_dwordx4 v34, v[4:7], s[10:11] offset:16
	global_store_dwordx4 v34, v[4:7], s[10:11] offset:32
	;; [unrolled: 1-line block ×3, first 2 shown]
	s_and_saveexec_b64 s[10:11], s[4:5]
	s_cbranch_execz .LBB0_16
; %bb.9:
	v_mov_b32_e32 v8, 0
	global_load_dwordx2 v[15:16], v8, s[6:7] offset:32 glc
	global_load_dwordx2 v[4:5], v8, s[6:7] offset:40
	v_mov_b32_e32 v13, s8
	v_mov_b32_e32 v14, s9
	s_waitcnt vmcnt(0)
	v_and_b32_e32 v4, s8, v4
	v_and_b32_e32 v5, s9, v5
	v_mul_lo_u32 v5, v5, 24
	v_mul_hi_u32 v6, v4, 24
	v_mul_lo_u32 v4, v4, 24
	v_add_u32_e32 v5, v6, v5
	v_add_co_u32_e32 v6, vcc, v2, v4
	v_addc_co_u32_e32 v7, vcc, v3, v5, vcc
	global_store_dwordx2 v[6:7], v[15:16], off
	s_waitcnt vmcnt(0)
	global_atomic_cmpswap_x2 v[4:5], v8, v[13:16], s[6:7] offset:32 glc
	s_waitcnt vmcnt(0)
	v_cmp_ne_u64_e32 vcc, v[4:5], v[15:16]
	s_and_saveexec_b64 s[12:13], vcc
	s_cbranch_execz .LBB0_12
; %bb.10:
	s_mov_b64 s[14:15], 0
.LBB0_11:                               ; =>This Inner Loop Header: Depth=1
	s_sleep 1
	global_store_dwordx2 v[6:7], v[4:5], off
	v_mov_b32_e32 v2, s8
	v_mov_b32_e32 v3, s9
	s_waitcnt vmcnt(0)
	global_atomic_cmpswap_x2 v[2:3], v8, v[2:5], s[6:7] offset:32 glc
	s_waitcnt vmcnt(0)
	v_cmp_eq_u64_e32 vcc, v[2:3], v[4:5]
	v_mov_b32_e32 v5, v3
	s_or_b64 s[14:15], vcc, s[14:15]
	v_mov_b32_e32 v4, v2
	s_andn2_b64 exec, exec, s[14:15]
	s_cbranch_execnz .LBB0_11
.LBB0_12:
	s_or_b64 exec, exec, s[12:13]
	v_mov_b32_e32 v5, 0
	global_load_dwordx2 v[2:3], v5, s[6:7] offset:16
	s_mov_b64 s[12:13], exec
	v_mbcnt_lo_u32_b32 v4, s12, 0
	v_mbcnt_hi_u32_b32 v4, s13, v4
	v_cmp_eq_u32_e32 vcc, 0, v4
	s_and_saveexec_b64 s[14:15], vcc
	s_cbranch_execz .LBB0_14
; %bb.13:
	s_bcnt1_i32_b64 s12, s[12:13]
	v_mov_b32_e32 v4, s12
	s_waitcnt vmcnt(0)
	global_atomic_add_x2 v[2:3], v[4:5], off offset:8
.LBB0_14:
	s_or_b64 exec, exec, s[14:15]
	s_waitcnt vmcnt(0)
	global_load_dwordx2 v[4:5], v[2:3], off offset:16
	s_waitcnt vmcnt(0)
	v_cmp_eq_u64_e32 vcc, 0, v[4:5]
	s_cbranch_vccnz .LBB0_16
; %bb.15:
	global_load_dword v2, v[2:3], off offset:24
	v_mov_b32_e32 v3, 0
	s_waitcnt vmcnt(0)
	global_store_dwordx2 v[4:5], v[2:3], off
	v_and_b32_e32 v2, 0xffffff, v2
	v_readfirstlane_b32 m0, v2
	s_sendmsg sendmsg(MSG_INTERRUPT)
.LBB0_16:
	s_or_b64 exec, exec, s[10:11]
	s_branch .LBB0_20
.LBB0_17:                               ;   in Loop: Header=BB0_20 Depth=1
	s_or_b64 exec, exec, s[10:11]
	v_readfirstlane_b32 s10, v2
	s_cmp_eq_u32 s10, 0
	s_cbranch_scc1 .LBB0_19
; %bb.18:                               ;   in Loop: Header=BB0_20 Depth=1
	s_sleep 1
	s_cbranch_execnz .LBB0_20
	s_branch .LBB0_22
.LBB0_19:
	s_branch .LBB0_22
.LBB0_20:                               ; =>This Inner Loop Header: Depth=1
	v_mov_b32_e32 v2, 1
	s_and_saveexec_b64 s[10:11], s[4:5]
	s_cbranch_execz .LBB0_17
; %bb.21:                               ;   in Loop: Header=BB0_20 Depth=1
	global_load_dword v2, v[9:10], off offset:20 glc
	s_waitcnt vmcnt(0)
	buffer_wbinvl1_vol
	v_and_b32_e32 v2, 1, v2
	s_branch .LBB0_17
.LBB0_22:
	global_load_dwordx2 v[6:7], v[11:12], off
	s_and_saveexec_b64 s[10:11], s[4:5]
	s_cbranch_execz .LBB0_25
; %bb.23:
	v_mov_b32_e32 v10, 0
	global_load_dwordx2 v[4:5], v10, s[6:7] offset:40
	global_load_dwordx2 v[11:12], v10, s[6:7] offset:24 glc
	global_load_dwordx2 v[8:9], v10, s[6:7]
	v_mov_b32_e32 v3, s9
	s_mov_b64 s[4:5], 0
	s_waitcnt vmcnt(2)
	v_add_co_u32_e32 v13, vcc, 1, v4
	v_addc_co_u32_e32 v14, vcc, 0, v5, vcc
	v_add_co_u32_e32 v2, vcc, s8, v13
	v_addc_co_u32_e32 v3, vcc, v14, v3, vcc
	v_cmp_eq_u64_e32 vcc, 0, v[2:3]
	v_cndmask_b32_e32 v3, v3, v14, vcc
	v_cndmask_b32_e32 v2, v2, v13, vcc
	v_and_b32_e32 v5, v3, v5
	v_and_b32_e32 v4, v2, v4
	v_mul_lo_u32 v5, v5, 24
	v_mul_hi_u32 v13, v4, 24
	v_mul_lo_u32 v14, v4, 24
	s_waitcnt vmcnt(1)
	v_mov_b32_e32 v4, v11
	v_add_u32_e32 v5, v13, v5
	s_waitcnt vmcnt(0)
	v_add_co_u32_e32 v8, vcc, v8, v14
	v_addc_co_u32_e32 v9, vcc, v9, v5, vcc
	global_store_dwordx2 v[8:9], v[11:12], off
	v_mov_b32_e32 v5, v12
	s_waitcnt vmcnt(0)
	global_atomic_cmpswap_x2 v[4:5], v10, v[2:5], s[6:7] offset:24 glc
	s_waitcnt vmcnt(0)
	v_cmp_ne_u64_e32 vcc, v[4:5], v[11:12]
	s_and_b64 exec, exec, vcc
	s_cbranch_execz .LBB0_25
.LBB0_24:                               ; =>This Inner Loop Header: Depth=1
	s_sleep 1
	global_store_dwordx2 v[8:9], v[4:5], off
	s_waitcnt vmcnt(0)
	global_atomic_cmpswap_x2 v[11:12], v10, v[2:5], s[6:7] offset:24 glc
	s_waitcnt vmcnt(0)
	v_cmp_eq_u64_e32 vcc, v[11:12], v[4:5]
	v_mov_b32_e32 v4, v11
	s_or_b64 s[4:5], vcc, s[4:5]
	v_mov_b32_e32 v5, v12
	s_andn2_b64 exec, exec, s[4:5]
	s_cbranch_execnz .LBB0_24
.LBB0_25:
	s_or_b64 exec, exec, s[10:11]
	s_getpc_b64 s[8:9]
	s_add_u32 s8, s8, .str.5@rel32@lo+4
	s_addc_u32 s9, s9, .str.5@rel32@hi+12
	s_cmp_lg_u64 s[8:9], 0
	s_cbranch_scc0 .LBB0_110
; %bb.26:
	s_waitcnt vmcnt(0)
	v_and_b32_e32 v31, 2, v6
	v_mov_b32_e32 v28, 0
	v_and_b32_e32 v2, -3, v6
	v_mov_b32_e32 v3, v7
	s_mov_b64 s[10:11], 3
	v_mov_b32_e32 v10, 2
	v_mov_b32_e32 v11, 1
	s_branch .LBB0_28
.LBB0_27:                               ;   in Loop: Header=BB0_28 Depth=1
	s_or_b64 exec, exec, s[16:17]
	s_sub_u32 s10, s10, s12
	s_subb_u32 s11, s11, s13
	s_add_u32 s8, s8, s12
	s_addc_u32 s9, s9, s13
	s_cmp_lg_u64 s[10:11], 0
	s_cbranch_scc0 .LBB0_109
.LBB0_28:                               ; =>This Loop Header: Depth=1
                                        ;     Child Loop BB0_31 Depth 2
                                        ;     Child Loop BB0_38 Depth 2
	;; [unrolled: 1-line block ×11, first 2 shown]
	v_cmp_lt_u64_e64 s[4:5], s[10:11], 56
	v_cmp_gt_u64_e64 s[14:15], s[10:11], 7
	s_and_b64 s[4:5], s[4:5], exec
	s_cselect_b32 s13, s11, 0
	s_cselect_b32 s12, s10, 56
	s_and_b64 vcc, exec, s[14:15]
	s_cbranch_vccnz .LBB0_33
; %bb.29:                               ;   in Loop: Header=BB0_28 Depth=1
	s_waitcnt vmcnt(0)
	v_mov_b32_e32 v4, 0
	s_cmp_eq_u64 s[10:11], 0
	v_mov_b32_e32 v5, 0
	s_mov_b64 s[4:5], 0
	s_cbranch_scc1 .LBB0_32
; %bb.30:                               ;   in Loop: Header=BB0_28 Depth=1
	v_mov_b32_e32 v4, 0
	s_lshl_b64 s[14:15], s[12:13], 3
	s_mov_b64 s[16:17], 0
	v_mov_b32_e32 v5, 0
	s_mov_b64 s[18:19], s[8:9]
.LBB0_31:                               ;   Parent Loop BB0_28 Depth=1
                                        ; =>  This Inner Loop Header: Depth=2
	global_load_ubyte v8, v28, s[18:19]
	s_waitcnt vmcnt(0)
	v_and_b32_e32 v27, 0xffff, v8
	v_lshlrev_b64 v[8:9], s16, v[27:28]
	s_add_u32 s16, s16, 8
	s_addc_u32 s17, s17, 0
	s_add_u32 s18, s18, 1
	s_addc_u32 s19, s19, 0
	v_or_b32_e32 v4, v8, v4
	s_cmp_lg_u32 s14, s16
	v_or_b32_e32 v5, v9, v5
	s_cbranch_scc1 .LBB0_31
.LBB0_32:                               ;   in Loop: Header=BB0_28 Depth=1
	s_mov_b32 s18, 0
	s_andn2_b64 vcc, exec, s[4:5]
	s_mov_b64 s[4:5], s[8:9]
	s_cbranch_vccz .LBB0_34
	s_branch .LBB0_35
.LBB0_33:                               ;   in Loop: Header=BB0_28 Depth=1
                                        ; implicit-def: $vgpr4_vgpr5
                                        ; implicit-def: $sgpr18
	s_mov_b64 s[4:5], s[8:9]
.LBB0_34:                               ;   in Loop: Header=BB0_28 Depth=1
	global_load_dwordx2 v[4:5], v28, s[8:9]
	s_add_i32 s18, s12, -8
	s_add_u32 s4, s8, 8
	s_addc_u32 s5, s9, 0
.LBB0_35:                               ;   in Loop: Header=BB0_28 Depth=1
	s_cmp_gt_u32 s18, 7
	s_cbranch_scc1 .LBB0_39
; %bb.36:                               ;   in Loop: Header=BB0_28 Depth=1
	s_cmp_eq_u32 s18, 0
	s_cbranch_scc1 .LBB0_40
; %bb.37:                               ;   in Loop: Header=BB0_28 Depth=1
	v_mov_b32_e32 v12, 0
	s_mov_b64 s[14:15], 0
	v_mov_b32_e32 v13, 0
	s_mov_b64 s[16:17], 0
.LBB0_38:                               ;   Parent Loop BB0_28 Depth=1
                                        ; =>  This Inner Loop Header: Depth=2
	s_add_u32 s20, s4, s16
	s_addc_u32 s21, s5, s17
	global_load_ubyte v8, v28, s[20:21]
	s_add_u32 s16, s16, 1
	s_addc_u32 s17, s17, 0
	s_waitcnt vmcnt(0)
	v_and_b32_e32 v27, 0xffff, v8
	v_lshlrev_b64 v[8:9], s14, v[27:28]
	s_add_u32 s14, s14, 8
	s_addc_u32 s15, s15, 0
	v_or_b32_e32 v12, v8, v12
	s_cmp_lg_u32 s18, s16
	v_or_b32_e32 v13, v9, v13
	s_cbranch_scc1 .LBB0_38
	s_branch .LBB0_41
.LBB0_39:                               ;   in Loop: Header=BB0_28 Depth=1
                                        ; implicit-def: $vgpr12_vgpr13
                                        ; implicit-def: $sgpr19
	s_branch .LBB0_42
.LBB0_40:                               ;   in Loop: Header=BB0_28 Depth=1
	v_mov_b32_e32 v12, 0
	v_mov_b32_e32 v13, 0
.LBB0_41:                               ;   in Loop: Header=BB0_28 Depth=1
	s_mov_b32 s19, 0
	s_cbranch_execnz .LBB0_43
.LBB0_42:                               ;   in Loop: Header=BB0_28 Depth=1
	global_load_dwordx2 v[12:13], v28, s[4:5]
	s_add_i32 s19, s18, -8
	s_add_u32 s4, s4, 8
	s_addc_u32 s5, s5, 0
.LBB0_43:                               ;   in Loop: Header=BB0_28 Depth=1
	s_cmp_gt_u32 s19, 7
	s_cbranch_scc1 .LBB0_47
; %bb.44:                               ;   in Loop: Header=BB0_28 Depth=1
	s_cmp_eq_u32 s19, 0
	s_cbranch_scc1 .LBB0_48
; %bb.45:                               ;   in Loop: Header=BB0_28 Depth=1
	v_mov_b32_e32 v14, 0
	s_mov_b64 s[14:15], 0
	v_mov_b32_e32 v15, 0
	s_mov_b64 s[16:17], 0
.LBB0_46:                               ;   Parent Loop BB0_28 Depth=1
                                        ; =>  This Inner Loop Header: Depth=2
	s_add_u32 s20, s4, s16
	s_addc_u32 s21, s5, s17
	global_load_ubyte v8, v28, s[20:21]
	s_add_u32 s16, s16, 1
	s_addc_u32 s17, s17, 0
	s_waitcnt vmcnt(0)
	v_and_b32_e32 v27, 0xffff, v8
	v_lshlrev_b64 v[8:9], s14, v[27:28]
	s_add_u32 s14, s14, 8
	s_addc_u32 s15, s15, 0
	v_or_b32_e32 v14, v8, v14
	s_cmp_lg_u32 s19, s16
	v_or_b32_e32 v15, v9, v15
	s_cbranch_scc1 .LBB0_46
	s_branch .LBB0_49
.LBB0_47:                               ;   in Loop: Header=BB0_28 Depth=1
                                        ; implicit-def: $sgpr18
	s_branch .LBB0_50
.LBB0_48:                               ;   in Loop: Header=BB0_28 Depth=1
	v_mov_b32_e32 v14, 0
	v_mov_b32_e32 v15, 0
.LBB0_49:                               ;   in Loop: Header=BB0_28 Depth=1
	s_mov_b32 s18, 0
	s_cbranch_execnz .LBB0_51
.LBB0_50:                               ;   in Loop: Header=BB0_28 Depth=1
	global_load_dwordx2 v[14:15], v28, s[4:5]
	s_add_i32 s18, s19, -8
	s_add_u32 s4, s4, 8
	s_addc_u32 s5, s5, 0
.LBB0_51:                               ;   in Loop: Header=BB0_28 Depth=1
	s_cmp_gt_u32 s18, 7
	s_cbranch_scc1 .LBB0_55
; %bb.52:                               ;   in Loop: Header=BB0_28 Depth=1
	s_cmp_eq_u32 s18, 0
	s_cbranch_scc1 .LBB0_56
; %bb.53:                               ;   in Loop: Header=BB0_28 Depth=1
	v_mov_b32_e32 v16, 0
	s_mov_b64 s[14:15], 0
	v_mov_b32_e32 v17, 0
	s_mov_b64 s[16:17], 0
.LBB0_54:                               ;   Parent Loop BB0_28 Depth=1
                                        ; =>  This Inner Loop Header: Depth=2
	s_add_u32 s20, s4, s16
	s_addc_u32 s21, s5, s17
	global_load_ubyte v8, v28, s[20:21]
	s_add_u32 s16, s16, 1
	s_addc_u32 s17, s17, 0
	s_waitcnt vmcnt(0)
	v_and_b32_e32 v27, 0xffff, v8
	v_lshlrev_b64 v[8:9], s14, v[27:28]
	s_add_u32 s14, s14, 8
	s_addc_u32 s15, s15, 0
	v_or_b32_e32 v16, v8, v16
	s_cmp_lg_u32 s18, s16
	v_or_b32_e32 v17, v9, v17
	s_cbranch_scc1 .LBB0_54
	s_branch .LBB0_57
.LBB0_55:                               ;   in Loop: Header=BB0_28 Depth=1
                                        ; implicit-def: $vgpr16_vgpr17
                                        ; implicit-def: $sgpr19
	s_branch .LBB0_58
.LBB0_56:                               ;   in Loop: Header=BB0_28 Depth=1
	v_mov_b32_e32 v16, 0
	v_mov_b32_e32 v17, 0
.LBB0_57:                               ;   in Loop: Header=BB0_28 Depth=1
	s_mov_b32 s19, 0
	s_cbranch_execnz .LBB0_59
.LBB0_58:                               ;   in Loop: Header=BB0_28 Depth=1
	global_load_dwordx2 v[16:17], v28, s[4:5]
	s_add_i32 s19, s18, -8
	s_add_u32 s4, s4, 8
	s_addc_u32 s5, s5, 0
.LBB0_59:                               ;   in Loop: Header=BB0_28 Depth=1
	s_cmp_gt_u32 s19, 7
	s_cbranch_scc1 .LBB0_63
; %bb.60:                               ;   in Loop: Header=BB0_28 Depth=1
	s_cmp_eq_u32 s19, 0
	s_cbranch_scc1 .LBB0_64
; %bb.61:                               ;   in Loop: Header=BB0_28 Depth=1
	v_mov_b32_e32 v18, 0
	s_mov_b64 s[14:15], 0
	v_mov_b32_e32 v19, 0
	s_mov_b64 s[16:17], 0
.LBB0_62:                               ;   Parent Loop BB0_28 Depth=1
                                        ; =>  This Inner Loop Header: Depth=2
	s_add_u32 s20, s4, s16
	s_addc_u32 s21, s5, s17
	global_load_ubyte v8, v28, s[20:21]
	s_add_u32 s16, s16, 1
	s_addc_u32 s17, s17, 0
	s_waitcnt vmcnt(0)
	v_and_b32_e32 v27, 0xffff, v8
	v_lshlrev_b64 v[8:9], s14, v[27:28]
	s_add_u32 s14, s14, 8
	s_addc_u32 s15, s15, 0
	v_or_b32_e32 v18, v8, v18
	s_cmp_lg_u32 s19, s16
	v_or_b32_e32 v19, v9, v19
	s_cbranch_scc1 .LBB0_62
	s_branch .LBB0_65
.LBB0_63:                               ;   in Loop: Header=BB0_28 Depth=1
                                        ; implicit-def: $sgpr18
	s_branch .LBB0_66
.LBB0_64:                               ;   in Loop: Header=BB0_28 Depth=1
	v_mov_b32_e32 v18, 0
	v_mov_b32_e32 v19, 0
.LBB0_65:                               ;   in Loop: Header=BB0_28 Depth=1
	s_mov_b32 s18, 0
	s_cbranch_execnz .LBB0_67
.LBB0_66:                               ;   in Loop: Header=BB0_28 Depth=1
	global_load_dwordx2 v[18:19], v28, s[4:5]
	s_add_i32 s18, s19, -8
	s_add_u32 s4, s4, 8
	s_addc_u32 s5, s5, 0
.LBB0_67:                               ;   in Loop: Header=BB0_28 Depth=1
	s_cmp_gt_u32 s18, 7
	s_cbranch_scc1 .LBB0_71
; %bb.68:                               ;   in Loop: Header=BB0_28 Depth=1
	s_cmp_eq_u32 s18, 0
	s_cbranch_scc1 .LBB0_72
; %bb.69:                               ;   in Loop: Header=BB0_28 Depth=1
	v_mov_b32_e32 v20, 0
	s_mov_b64 s[14:15], 0
	v_mov_b32_e32 v21, 0
	s_mov_b64 s[16:17], 0
.LBB0_70:                               ;   Parent Loop BB0_28 Depth=1
                                        ; =>  This Inner Loop Header: Depth=2
	s_add_u32 s20, s4, s16
	s_addc_u32 s21, s5, s17
	global_load_ubyte v8, v28, s[20:21]
	s_add_u32 s16, s16, 1
	s_addc_u32 s17, s17, 0
	s_waitcnt vmcnt(0)
	v_and_b32_e32 v27, 0xffff, v8
	v_lshlrev_b64 v[8:9], s14, v[27:28]
	s_add_u32 s14, s14, 8
	s_addc_u32 s15, s15, 0
	v_or_b32_e32 v20, v8, v20
	s_cmp_lg_u32 s18, s16
	v_or_b32_e32 v21, v9, v21
	s_cbranch_scc1 .LBB0_70
	s_branch .LBB0_73
.LBB0_71:                               ;   in Loop: Header=BB0_28 Depth=1
                                        ; implicit-def: $vgpr20_vgpr21
                                        ; implicit-def: $sgpr19
	s_branch .LBB0_74
.LBB0_72:                               ;   in Loop: Header=BB0_28 Depth=1
	v_mov_b32_e32 v20, 0
	v_mov_b32_e32 v21, 0
.LBB0_73:                               ;   in Loop: Header=BB0_28 Depth=1
	s_mov_b32 s19, 0
	s_cbranch_execnz .LBB0_75
.LBB0_74:                               ;   in Loop: Header=BB0_28 Depth=1
	global_load_dwordx2 v[20:21], v28, s[4:5]
	s_add_i32 s19, s18, -8
	s_add_u32 s4, s4, 8
	s_addc_u32 s5, s5, 0
.LBB0_75:                               ;   in Loop: Header=BB0_28 Depth=1
	s_cmp_gt_u32 s19, 7
	s_cbranch_scc1 .LBB0_79
; %bb.76:                               ;   in Loop: Header=BB0_28 Depth=1
	s_cmp_eq_u32 s19, 0
	s_cbranch_scc1 .LBB0_80
; %bb.77:                               ;   in Loop: Header=BB0_28 Depth=1
	v_mov_b32_e32 v22, 0
	s_mov_b64 s[14:15], 0
	v_mov_b32_e32 v23, 0
	s_mov_b64 s[16:17], s[4:5]
.LBB0_78:                               ;   Parent Loop BB0_28 Depth=1
                                        ; =>  This Inner Loop Header: Depth=2
	global_load_ubyte v8, v28, s[16:17]
	s_add_i32 s19, s19, -1
	s_waitcnt vmcnt(0)
	v_and_b32_e32 v27, 0xffff, v8
	v_lshlrev_b64 v[8:9], s14, v[27:28]
	s_add_u32 s14, s14, 8
	s_addc_u32 s15, s15, 0
	s_add_u32 s16, s16, 1
	s_addc_u32 s17, s17, 0
	v_or_b32_e32 v22, v8, v22
	s_cmp_lg_u32 s19, 0
	v_or_b32_e32 v23, v9, v23
	s_cbranch_scc1 .LBB0_78
	s_branch .LBB0_81
.LBB0_79:                               ;   in Loop: Header=BB0_28 Depth=1
	s_branch .LBB0_82
.LBB0_80:                               ;   in Loop: Header=BB0_28 Depth=1
	v_mov_b32_e32 v22, 0
	v_mov_b32_e32 v23, 0
.LBB0_81:                               ;   in Loop: Header=BB0_28 Depth=1
	s_cbranch_execnz .LBB0_83
.LBB0_82:                               ;   in Loop: Header=BB0_28 Depth=1
	global_load_dwordx2 v[22:23], v28, s[4:5]
.LBB0_83:                               ;   in Loop: Header=BB0_28 Depth=1
	v_readfirstlane_b32 s4, v35
	v_mov_b32_e32 v8, 0
	v_mov_b32_e32 v9, 0
	v_cmp_eq_u32_e64 s[4:5], s4, v35
	s_and_saveexec_b64 s[14:15], s[4:5]
	s_cbranch_execz .LBB0_89
; %bb.84:                               ;   in Loop: Header=BB0_28 Depth=1
	global_load_dwordx2 v[26:27], v28, s[6:7] offset:24 glc
	s_waitcnt vmcnt(0)
	buffer_wbinvl1_vol
	global_load_dwordx2 v[8:9], v28, s[6:7] offset:40
	global_load_dwordx2 v[24:25], v28, s[6:7]
	s_waitcnt vmcnt(1)
	v_and_b32_e32 v8, v8, v26
	v_and_b32_e32 v9, v9, v27
	v_mul_lo_u32 v9, v9, 24
	v_mul_hi_u32 v29, v8, 24
	v_mul_lo_u32 v8, v8, 24
	v_add_u32_e32 v9, v29, v9
	s_waitcnt vmcnt(0)
	v_add_co_u32_e32 v8, vcc, v24, v8
	v_addc_co_u32_e32 v9, vcc, v25, v9, vcc
	global_load_dwordx2 v[24:25], v[8:9], off glc
	s_waitcnt vmcnt(0)
	global_atomic_cmpswap_x2 v[8:9], v28, v[24:27], s[6:7] offset:24 glc
	s_waitcnt vmcnt(0)
	buffer_wbinvl1_vol
	v_cmp_ne_u64_e32 vcc, v[8:9], v[26:27]
	s_and_saveexec_b64 s[16:17], vcc
	s_cbranch_execz .LBB0_88
; %bb.85:                               ;   in Loop: Header=BB0_28 Depth=1
	s_mov_b64 s[18:19], 0
.LBB0_86:                               ;   Parent Loop BB0_28 Depth=1
                                        ; =>  This Inner Loop Header: Depth=2
	s_sleep 1
	global_load_dwordx2 v[24:25], v28, s[6:7] offset:40
	global_load_dwordx2 v[29:30], v28, s[6:7]
	v_mov_b32_e32 v27, v9
	v_mov_b32_e32 v26, v8
	s_waitcnt vmcnt(1)
	v_and_b32_e32 v8, v24, v26
	s_waitcnt vmcnt(0)
	v_mad_u64_u32 v[8:9], s[20:21], v8, 24, v[29:30]
	v_and_b32_e32 v24, v25, v27
	v_mad_u64_u32 v[24:25], s[20:21], v24, 24, v[9:10]
	v_mov_b32_e32 v9, v24
	global_load_dwordx2 v[24:25], v[8:9], off glc
	s_waitcnt vmcnt(0)
	global_atomic_cmpswap_x2 v[8:9], v28, v[24:27], s[6:7] offset:24 glc
	s_waitcnt vmcnt(0)
	buffer_wbinvl1_vol
	v_cmp_eq_u64_e32 vcc, v[8:9], v[26:27]
	s_or_b64 s[18:19], vcc, s[18:19]
	s_andn2_b64 exec, exec, s[18:19]
	s_cbranch_execnz .LBB0_86
; %bb.87:                               ;   in Loop: Header=BB0_28 Depth=1
	s_or_b64 exec, exec, s[18:19]
.LBB0_88:                               ;   in Loop: Header=BB0_28 Depth=1
	s_or_b64 exec, exec, s[16:17]
.LBB0_89:                               ;   in Loop: Header=BB0_28 Depth=1
	s_or_b64 exec, exec, s[14:15]
	global_load_dwordx2 v[29:30], v28, s[6:7] offset:40
	global_load_dwordx4 v[24:27], v28, s[6:7]
	v_readfirstlane_b32 s14, v8
	v_readfirstlane_b32 s15, v9
	s_mov_b64 s[16:17], exec
	s_waitcnt vmcnt(1)
	v_readfirstlane_b32 s18, v29
	v_readfirstlane_b32 s19, v30
	s_and_b64 s[18:19], s[14:15], s[18:19]
	s_mul_i32 s20, s19, 24
	s_mul_hi_u32 s21, s18, 24
	s_mul_i32 s22, s18, 24
	s_add_i32 s20, s21, s20
	v_mov_b32_e32 v8, s20
	s_waitcnt vmcnt(0)
	v_add_co_u32_e32 v29, vcc, s22, v24
	v_addc_co_u32_e32 v30, vcc, v25, v8, vcc
	s_and_saveexec_b64 s[20:21], s[4:5]
	s_cbranch_execz .LBB0_91
; %bb.90:                               ;   in Loop: Header=BB0_28 Depth=1
	v_mov_b32_e32 v8, s16
	v_mov_b32_e32 v9, s17
	global_store_dwordx4 v[29:30], v[8:11], off offset:8
.LBB0_91:                               ;   in Loop: Header=BB0_28 Depth=1
	s_or_b64 exec, exec, s[20:21]
	s_lshl_b64 s[16:17], s[18:19], 12
	v_mov_b32_e32 v8, s17
	v_add_co_u32_e32 v26, vcc, s16, v26
	v_addc_co_u32_e32 v32, vcc, v27, v8, vcc
	v_cmp_gt_u64_e64 vcc, s[10:11], 56
	v_or_b32_e32 v9, v2, v31
	s_lshl_b32 s16, s12, 2
	v_cndmask_b32_e32 v2, v9, v2, vcc
	s_add_i32 s16, s16, 28
	v_or_b32_e32 v8, 0, v3
	s_and_b32 s16, s16, 0x1e0
	v_and_b32_e32 v2, 0xffffff1f, v2
	v_cndmask_b32_e32 v3, v8, v3, vcc
	v_or_b32_e32 v2, s16, v2
	v_readfirstlane_b32 s16, v26
	v_readfirstlane_b32 s17, v32
	s_nop 4
	global_store_dwordx4 v34, v[2:5], s[16:17]
	global_store_dwordx4 v34, v[12:15], s[16:17] offset:16
	global_store_dwordx4 v34, v[16:19], s[16:17] offset:32
	;; [unrolled: 1-line block ×3, first 2 shown]
	s_and_saveexec_b64 s[16:17], s[4:5]
	s_cbranch_execz .LBB0_99
; %bb.92:                               ;   in Loop: Header=BB0_28 Depth=1
	global_load_dwordx2 v[14:15], v28, s[6:7] offset:32 glc
	global_load_dwordx2 v[2:3], v28, s[6:7] offset:40
	v_mov_b32_e32 v12, s14
	v_mov_b32_e32 v13, s15
	s_waitcnt vmcnt(0)
	v_readfirstlane_b32 s18, v2
	v_readfirstlane_b32 s19, v3
	s_and_b64 s[18:19], s[18:19], s[14:15]
	s_mul_i32 s19, s19, 24
	s_mul_hi_u32 s20, s18, 24
	s_mul_i32 s18, s18, 24
	s_add_i32 s19, s20, s19
	v_mov_b32_e32 v2, s19
	v_add_co_u32_e32 v8, vcc, s18, v24
	v_addc_co_u32_e32 v9, vcc, v25, v2, vcc
	global_store_dwordx2 v[8:9], v[14:15], off
	s_waitcnt vmcnt(0)
	global_atomic_cmpswap_x2 v[4:5], v28, v[12:15], s[6:7] offset:32 glc
	s_waitcnt vmcnt(0)
	v_cmp_ne_u64_e32 vcc, v[4:5], v[14:15]
	s_and_saveexec_b64 s[18:19], vcc
	s_cbranch_execz .LBB0_95
; %bb.93:                               ;   in Loop: Header=BB0_28 Depth=1
	s_mov_b64 s[20:21], 0
.LBB0_94:                               ;   Parent Loop BB0_28 Depth=1
                                        ; =>  This Inner Loop Header: Depth=2
	s_sleep 1
	global_store_dwordx2 v[8:9], v[4:5], off
	v_mov_b32_e32 v2, s14
	v_mov_b32_e32 v3, s15
	s_waitcnt vmcnt(0)
	global_atomic_cmpswap_x2 v[2:3], v28, v[2:5], s[6:7] offset:32 glc
	s_waitcnt vmcnt(0)
	v_cmp_eq_u64_e32 vcc, v[2:3], v[4:5]
	v_mov_b32_e32 v5, v3
	s_or_b64 s[20:21], vcc, s[20:21]
	v_mov_b32_e32 v4, v2
	s_andn2_b64 exec, exec, s[20:21]
	s_cbranch_execnz .LBB0_94
.LBB0_95:                               ;   in Loop: Header=BB0_28 Depth=1
	s_or_b64 exec, exec, s[18:19]
	global_load_dwordx2 v[2:3], v28, s[6:7] offset:16
	s_mov_b64 s[20:21], exec
	v_mbcnt_lo_u32_b32 v4, s20, 0
	v_mbcnt_hi_u32_b32 v4, s21, v4
	v_cmp_eq_u32_e32 vcc, 0, v4
	s_and_saveexec_b64 s[18:19], vcc
	s_cbranch_execz .LBB0_97
; %bb.96:                               ;   in Loop: Header=BB0_28 Depth=1
	s_bcnt1_i32_b64 s20, s[20:21]
	v_mov_b32_e32 v27, s20
	s_waitcnt vmcnt(0)
	global_atomic_add_x2 v[2:3], v[27:28], off offset:8
.LBB0_97:                               ;   in Loop: Header=BB0_28 Depth=1
	s_or_b64 exec, exec, s[18:19]
	s_waitcnt vmcnt(0)
	global_load_dwordx2 v[4:5], v[2:3], off offset:16
	s_waitcnt vmcnt(0)
	v_cmp_eq_u64_e32 vcc, 0, v[4:5]
	s_cbranch_vccnz .LBB0_99
; %bb.98:                               ;   in Loop: Header=BB0_28 Depth=1
	global_load_dword v27, v[2:3], off offset:24
	s_waitcnt vmcnt(0)
	v_and_b32_e32 v2, 0xffffff, v27
	v_readfirstlane_b32 m0, v2
	global_store_dwordx2 v[4:5], v[27:28], off
	s_sendmsg sendmsg(MSG_INTERRUPT)
.LBB0_99:                               ;   in Loop: Header=BB0_28 Depth=1
	s_or_b64 exec, exec, s[16:17]
	v_add_co_u32_e32 v2, vcc, v26, v34
	v_addc_co_u32_e32 v3, vcc, 0, v32, vcc
	s_branch .LBB0_103
.LBB0_100:                              ;   in Loop: Header=BB0_103 Depth=2
	s_or_b64 exec, exec, s[16:17]
	v_readfirstlane_b32 s16, v4
	s_cmp_eq_u32 s16, 0
	s_cbranch_scc1 .LBB0_102
; %bb.101:                              ;   in Loop: Header=BB0_103 Depth=2
	s_sleep 1
	s_cbranch_execnz .LBB0_103
	s_branch .LBB0_105
.LBB0_102:                              ;   in Loop: Header=BB0_28 Depth=1
	s_branch .LBB0_105
.LBB0_103:                              ;   Parent Loop BB0_28 Depth=1
                                        ; =>  This Inner Loop Header: Depth=2
	v_mov_b32_e32 v4, 1
	s_and_saveexec_b64 s[16:17], s[4:5]
	s_cbranch_execz .LBB0_100
; %bb.104:                              ;   in Loop: Header=BB0_103 Depth=2
	global_load_dword v4, v[29:30], off offset:20 glc
	s_waitcnt vmcnt(0)
	buffer_wbinvl1_vol
	v_and_b32_e32 v4, 1, v4
	s_branch .LBB0_100
.LBB0_105:                              ;   in Loop: Header=BB0_28 Depth=1
	global_load_dwordx4 v[2:5], v[2:3], off
	s_and_saveexec_b64 s[16:17], s[4:5]
	s_cbranch_execz .LBB0_27
; %bb.106:                              ;   in Loop: Header=BB0_28 Depth=1
	global_load_dwordx2 v[4:5], v28, s[6:7] offset:40
	global_load_dwordx2 v[8:9], v28, s[6:7] offset:24 glc
	global_load_dwordx2 v[15:16], v28, s[6:7]
	v_mov_b32_e32 v13, s15
	s_waitcnt vmcnt(2)
	v_add_co_u32_e32 v14, vcc, 1, v4
	v_addc_co_u32_e32 v17, vcc, 0, v5, vcc
	v_add_co_u32_e32 v12, vcc, s14, v14
	v_addc_co_u32_e32 v13, vcc, v17, v13, vcc
	v_cmp_eq_u64_e32 vcc, 0, v[12:13]
	v_cndmask_b32_e32 v13, v13, v17, vcc
	v_cndmask_b32_e32 v12, v12, v14, vcc
	v_and_b32_e32 v5, v13, v5
	v_and_b32_e32 v4, v12, v4
	v_mul_lo_u32 v5, v5, 24
	v_mul_hi_u32 v17, v4, 24
	v_mul_lo_u32 v4, v4, 24
	s_waitcnt vmcnt(1)
	v_mov_b32_e32 v14, v8
	v_add_u32_e32 v5, v17, v5
	s_waitcnt vmcnt(0)
	v_add_co_u32_e32 v4, vcc, v15, v4
	v_addc_co_u32_e32 v5, vcc, v16, v5, vcc
	global_store_dwordx2 v[4:5], v[8:9], off
	v_mov_b32_e32 v15, v9
	s_waitcnt vmcnt(0)
	global_atomic_cmpswap_x2 v[14:15], v28, v[12:15], s[6:7] offset:24 glc
	s_waitcnt vmcnt(0)
	v_cmp_ne_u64_e32 vcc, v[14:15], v[8:9]
	s_and_b64 exec, exec, vcc
	s_cbranch_execz .LBB0_27
; %bb.107:                              ;   in Loop: Header=BB0_28 Depth=1
	s_mov_b64 s[4:5], 0
.LBB0_108:                              ;   Parent Loop BB0_28 Depth=1
                                        ; =>  This Inner Loop Header: Depth=2
	s_sleep 1
	global_store_dwordx2 v[4:5], v[14:15], off
	s_waitcnt vmcnt(0)
	global_atomic_cmpswap_x2 v[8:9], v28, v[12:15], s[6:7] offset:24 glc
	s_waitcnt vmcnt(0)
	v_cmp_eq_u64_e32 vcc, v[8:9], v[14:15]
	v_mov_b32_e32 v15, v9
	s_or_b64 s[4:5], vcc, s[4:5]
	v_mov_b32_e32 v14, v8
	s_andn2_b64 exec, exec, s[4:5]
	s_cbranch_execnz .LBB0_108
	s_branch .LBB0_27
.LBB0_109:
	s_branch .LBB0_137
.LBB0_110:
                                        ; implicit-def: $vgpr2_vgpr3
	s_cbranch_execz .LBB0_137
; %bb.111:
	v_readfirstlane_b32 s4, v35
	v_mov_b32_e32 v9, 0
	v_mov_b32_e32 v10, 0
	v_cmp_eq_u32_e64 s[4:5], s4, v35
	s_and_saveexec_b64 s[8:9], s[4:5]
	s_cbranch_execz .LBB0_117
; %bb.112:
	s_waitcnt vmcnt(0)
	v_mov_b32_e32 v2, 0
	global_load_dwordx2 v[11:12], v2, s[6:7] offset:24 glc
	s_waitcnt vmcnt(0)
	buffer_wbinvl1_vol
	global_load_dwordx2 v[3:4], v2, s[6:7] offset:40
	global_load_dwordx2 v[8:9], v2, s[6:7]
	s_waitcnt vmcnt(1)
	v_and_b32_e32 v3, v3, v11
	v_and_b32_e32 v4, v4, v12
	v_mul_lo_u32 v4, v4, 24
	v_mul_hi_u32 v5, v3, 24
	v_mul_lo_u32 v3, v3, 24
	v_add_u32_e32 v4, v5, v4
	s_waitcnt vmcnt(0)
	v_add_co_u32_e32 v3, vcc, v8, v3
	v_addc_co_u32_e32 v4, vcc, v9, v4, vcc
	global_load_dwordx2 v[9:10], v[3:4], off glc
	s_waitcnt vmcnt(0)
	global_atomic_cmpswap_x2 v[9:10], v2, v[9:12], s[6:7] offset:24 glc
	s_waitcnt vmcnt(0)
	buffer_wbinvl1_vol
	v_cmp_ne_u64_e32 vcc, v[9:10], v[11:12]
	s_and_saveexec_b64 s[10:11], vcc
	s_cbranch_execz .LBB0_116
; %bb.113:
	s_mov_b64 s[12:13], 0
.LBB0_114:                              ; =>This Inner Loop Header: Depth=1
	s_sleep 1
	global_load_dwordx2 v[3:4], v2, s[6:7] offset:40
	global_load_dwordx2 v[13:14], v2, s[6:7]
	v_mov_b32_e32 v12, v10
	v_mov_b32_e32 v11, v9
	s_waitcnt vmcnt(1)
	v_and_b32_e32 v3, v3, v11
	s_waitcnt vmcnt(0)
	v_mad_u64_u32 v[8:9], s[14:15], v3, 24, v[13:14]
	v_and_b32_e32 v4, v4, v12
	v_mov_b32_e32 v3, v9
	v_mad_u64_u32 v[3:4], s[14:15], v4, 24, v[3:4]
	v_mov_b32_e32 v9, v3
	global_load_dwordx2 v[9:10], v[8:9], off glc
	s_waitcnt vmcnt(0)
	global_atomic_cmpswap_x2 v[9:10], v2, v[9:12], s[6:7] offset:24 glc
	s_waitcnt vmcnt(0)
	buffer_wbinvl1_vol
	v_cmp_eq_u64_e32 vcc, v[9:10], v[11:12]
	s_or_b64 s[12:13], vcc, s[12:13]
	s_andn2_b64 exec, exec, s[12:13]
	s_cbranch_execnz .LBB0_114
; %bb.115:
	s_or_b64 exec, exec, s[12:13]
.LBB0_116:
	s_or_b64 exec, exec, s[10:11]
.LBB0_117:
	s_or_b64 exec, exec, s[8:9]
	v_mov_b32_e32 v8, 0
	global_load_dwordx2 v[11:12], v8, s[6:7] offset:40
	global_load_dwordx4 v[2:5], v8, s[6:7]
	v_readfirstlane_b32 s8, v9
	v_readfirstlane_b32 s9, v10
	s_mov_b64 s[10:11], exec
	s_waitcnt vmcnt(1)
	v_readfirstlane_b32 s12, v11
	v_readfirstlane_b32 s13, v12
	s_and_b64 s[12:13], s[8:9], s[12:13]
	s_mul_i32 s14, s13, 24
	s_mul_hi_u32 s15, s12, 24
	s_mul_i32 s16, s12, 24
	s_add_i32 s14, s15, s14
	v_mov_b32_e32 v9, s14
	s_waitcnt vmcnt(0)
	v_add_co_u32_e32 v10, vcc, s16, v2
	v_addc_co_u32_e32 v11, vcc, v3, v9, vcc
	s_and_saveexec_b64 s[14:15], s[4:5]
	s_cbranch_execz .LBB0_119
; %bb.118:
	v_mov_b32_e32 v13, s11
	v_mov_b32_e32 v12, s10
	;; [unrolled: 1-line block ×4, first 2 shown]
	global_store_dwordx4 v[10:11], v[12:15], off offset:8
.LBB0_119:
	s_or_b64 exec, exec, s[14:15]
	s_lshl_b64 s[10:11], s[12:13], 12
	v_mov_b32_e32 v9, s11
	v_add_co_u32_e32 v4, vcc, s10, v4
	v_addc_co_u32_e32 v5, vcc, v5, v9, vcc
	s_movk_i32 s10, 0xff1f
	v_and_or_b32 v6, v6, s10, 32
	v_add_co_u32_e32 v12, vcc, v4, v34
	s_mov_b32 s12, 0
	v_mov_b32_e32 v9, v8
	v_readfirstlane_b32 s10, v4
	v_readfirstlane_b32 s11, v5
	v_addc_co_u32_e32 v13, vcc, 0, v5, vcc
	s_mov_b32 s13, s12
	s_mov_b32 s14, s12
	;; [unrolled: 1-line block ×3, first 2 shown]
	s_nop 0
	global_store_dwordx4 v34, v[6:9], s[10:11]
	v_mov_b32_e32 v4, s12
	v_mov_b32_e32 v5, s13
	v_mov_b32_e32 v6, s14
	v_mov_b32_e32 v7, s15
	global_store_dwordx4 v34, v[4:7], s[10:11] offset:16
	global_store_dwordx4 v34, v[4:7], s[10:11] offset:32
	;; [unrolled: 1-line block ×3, first 2 shown]
	s_and_saveexec_b64 s[10:11], s[4:5]
	s_cbranch_execz .LBB0_127
; %bb.120:
	v_mov_b32_e32 v8, 0
	global_load_dwordx2 v[16:17], v8, s[6:7] offset:32 glc
	global_load_dwordx2 v[4:5], v8, s[6:7] offset:40
	v_mov_b32_e32 v14, s8
	v_mov_b32_e32 v15, s9
	s_waitcnt vmcnt(0)
	v_readfirstlane_b32 s12, v4
	v_readfirstlane_b32 s13, v5
	s_and_b64 s[12:13], s[12:13], s[8:9]
	s_mul_i32 s13, s13, 24
	s_mul_hi_u32 s14, s12, 24
	s_mul_i32 s12, s12, 24
	s_add_i32 s13, s14, s13
	v_mov_b32_e32 v4, s13
	v_add_co_u32_e32 v6, vcc, s12, v2
	v_addc_co_u32_e32 v7, vcc, v3, v4, vcc
	global_store_dwordx2 v[6:7], v[16:17], off
	s_waitcnt vmcnt(0)
	global_atomic_cmpswap_x2 v[4:5], v8, v[14:17], s[6:7] offset:32 glc
	s_waitcnt vmcnt(0)
	v_cmp_ne_u64_e32 vcc, v[4:5], v[16:17]
	s_and_saveexec_b64 s[12:13], vcc
	s_cbranch_execz .LBB0_123
; %bb.121:
	s_mov_b64 s[14:15], 0
.LBB0_122:                              ; =>This Inner Loop Header: Depth=1
	s_sleep 1
	global_store_dwordx2 v[6:7], v[4:5], off
	v_mov_b32_e32 v2, s8
	v_mov_b32_e32 v3, s9
	s_waitcnt vmcnt(0)
	global_atomic_cmpswap_x2 v[2:3], v8, v[2:5], s[6:7] offset:32 glc
	s_waitcnt vmcnt(0)
	v_cmp_eq_u64_e32 vcc, v[2:3], v[4:5]
	v_mov_b32_e32 v5, v3
	s_or_b64 s[14:15], vcc, s[14:15]
	v_mov_b32_e32 v4, v2
	s_andn2_b64 exec, exec, s[14:15]
	s_cbranch_execnz .LBB0_122
.LBB0_123:
	s_or_b64 exec, exec, s[12:13]
	v_mov_b32_e32 v5, 0
	global_load_dwordx2 v[2:3], v5, s[6:7] offset:16
	s_mov_b64 s[12:13], exec
	v_mbcnt_lo_u32_b32 v4, s12, 0
	v_mbcnt_hi_u32_b32 v4, s13, v4
	v_cmp_eq_u32_e32 vcc, 0, v4
	s_and_saveexec_b64 s[14:15], vcc
	s_cbranch_execz .LBB0_125
; %bb.124:
	s_bcnt1_i32_b64 s12, s[12:13]
	v_mov_b32_e32 v4, s12
	s_waitcnt vmcnt(0)
	global_atomic_add_x2 v[2:3], v[4:5], off offset:8
.LBB0_125:
	s_or_b64 exec, exec, s[14:15]
	s_waitcnt vmcnt(0)
	global_load_dwordx2 v[4:5], v[2:3], off offset:16
	s_waitcnt vmcnt(0)
	v_cmp_eq_u64_e32 vcc, 0, v[4:5]
	s_cbranch_vccnz .LBB0_127
; %bb.126:
	global_load_dword v2, v[2:3], off offset:24
	v_mov_b32_e32 v3, 0
	s_waitcnt vmcnt(0)
	global_store_dwordx2 v[4:5], v[2:3], off
	v_and_b32_e32 v2, 0xffffff, v2
	v_readfirstlane_b32 m0, v2
	s_sendmsg sendmsg(MSG_INTERRUPT)
.LBB0_127:
	s_or_b64 exec, exec, s[10:11]
	s_branch .LBB0_131
.LBB0_128:                              ;   in Loop: Header=BB0_131 Depth=1
	s_or_b64 exec, exec, s[10:11]
	v_readfirstlane_b32 s10, v2
	s_cmp_eq_u32 s10, 0
	s_cbranch_scc1 .LBB0_130
; %bb.129:                              ;   in Loop: Header=BB0_131 Depth=1
	s_sleep 1
	s_cbranch_execnz .LBB0_131
	s_branch .LBB0_133
.LBB0_130:
	s_branch .LBB0_133
.LBB0_131:                              ; =>This Inner Loop Header: Depth=1
	v_mov_b32_e32 v2, 1
	s_and_saveexec_b64 s[10:11], s[4:5]
	s_cbranch_execz .LBB0_128
; %bb.132:                              ;   in Loop: Header=BB0_131 Depth=1
	global_load_dword v2, v[10:11], off offset:20 glc
	s_waitcnt vmcnt(0)
	buffer_wbinvl1_vol
	v_and_b32_e32 v2, 1, v2
	s_branch .LBB0_128
.LBB0_133:
	global_load_dwordx2 v[2:3], v[12:13], off
	s_and_saveexec_b64 s[10:11], s[4:5]
	s_cbranch_execz .LBB0_136
; %bb.134:
	v_mov_b32_e32 v10, 0
	global_load_dwordx2 v[6:7], v10, s[6:7] offset:40
	global_load_dwordx2 v[11:12], v10, s[6:7] offset:24 glc
	global_load_dwordx2 v[8:9], v10, s[6:7]
	v_mov_b32_e32 v5, s9
	s_mov_b64 s[4:5], 0
	s_waitcnt vmcnt(2)
	v_add_co_u32_e32 v13, vcc, 1, v6
	v_addc_co_u32_e32 v14, vcc, 0, v7, vcc
	v_add_co_u32_e32 v4, vcc, s8, v13
	v_addc_co_u32_e32 v5, vcc, v14, v5, vcc
	v_cmp_eq_u64_e32 vcc, 0, v[4:5]
	v_cndmask_b32_e32 v5, v5, v14, vcc
	v_cndmask_b32_e32 v4, v4, v13, vcc
	v_and_b32_e32 v7, v5, v7
	v_and_b32_e32 v6, v4, v6
	v_mul_lo_u32 v7, v7, 24
	v_mul_hi_u32 v13, v6, 24
	v_mul_lo_u32 v14, v6, 24
	s_waitcnt vmcnt(1)
	v_mov_b32_e32 v6, v11
	v_add_u32_e32 v7, v13, v7
	s_waitcnt vmcnt(0)
	v_add_co_u32_e32 v8, vcc, v8, v14
	v_addc_co_u32_e32 v9, vcc, v9, v7, vcc
	global_store_dwordx2 v[8:9], v[11:12], off
	v_mov_b32_e32 v7, v12
	s_waitcnt vmcnt(0)
	global_atomic_cmpswap_x2 v[6:7], v10, v[4:7], s[6:7] offset:24 glc
	s_waitcnt vmcnt(0)
	v_cmp_ne_u64_e32 vcc, v[6:7], v[11:12]
	s_and_b64 exec, exec, vcc
	s_cbranch_execz .LBB0_136
.LBB0_135:                              ; =>This Inner Loop Header: Depth=1
	s_sleep 1
	global_store_dwordx2 v[8:9], v[6:7], off
	s_waitcnt vmcnt(0)
	global_atomic_cmpswap_x2 v[11:12], v10, v[4:7], s[6:7] offset:24 glc
	s_waitcnt vmcnt(0)
	v_cmp_eq_u64_e32 vcc, v[11:12], v[6:7]
	v_mov_b32_e32 v6, v11
	s_or_b64 s[4:5], vcc, s[4:5]
	v_mov_b32_e32 v7, v12
	s_andn2_b64 exec, exec, s[4:5]
	s_cbranch_execnz .LBB0_135
.LBB0_136:
	s_or_b64 exec, exec, s[10:11]
.LBB0_137:
	v_cmp_ne_u64_e32 vcc, 0, v[0:1]
	v_mov_b32_e32 v26, 0
	v_mov_b32_e32 v27, 0
	s_mov_b64 s[10:11], 0
	s_and_saveexec_b64 s[8:9], vcc
	s_cbranch_execnz .LBB0_162
; %bb.138:
	s_or_b64 exec, exec, s[8:9]
	s_and_saveexec_b64 s[4:5], vcc
	s_xor_b64 s[8:9], exec, s[4:5]
	s_cbranch_execnz .LBB0_165
.LBB0_139:
	s_andn2_saveexec_b64 s[8:9], s[8:9]
	s_cbranch_execz .LBB0_254
.LBB0_140:
	v_readfirstlane_b32 s4, v35
	v_mov_b32_e32 v0, 0
	v_mov_b32_e32 v1, 0
	v_cmp_eq_u32_e64 s[4:5], s4, v35
	s_and_saveexec_b64 s[10:11], s[4:5]
	s_cbranch_execz .LBB0_146
; %bb.141:
	s_waitcnt vmcnt(0)
	v_mov_b32_e32 v4, 0
	global_load_dwordx2 v[7:8], v4, s[6:7] offset:24 glc
	s_waitcnt vmcnt(0)
	buffer_wbinvl1_vol
	global_load_dwordx2 v[0:1], v4, s[6:7] offset:40
	global_load_dwordx2 v[5:6], v4, s[6:7]
	s_waitcnt vmcnt(1)
	v_and_b32_e32 v0, v0, v7
	v_and_b32_e32 v1, v1, v8
	v_mul_lo_u32 v1, v1, 24
	v_mul_hi_u32 v9, v0, 24
	v_mul_lo_u32 v0, v0, 24
	v_add_u32_e32 v1, v9, v1
	s_waitcnt vmcnt(0)
	v_add_co_u32_e32 v0, vcc, v5, v0
	v_addc_co_u32_e32 v1, vcc, v6, v1, vcc
	global_load_dwordx2 v[5:6], v[0:1], off glc
	s_waitcnt vmcnt(0)
	global_atomic_cmpswap_x2 v[0:1], v4, v[5:8], s[6:7] offset:24 glc
	s_waitcnt vmcnt(0)
	buffer_wbinvl1_vol
	v_cmp_ne_u64_e32 vcc, v[0:1], v[7:8]
	s_and_saveexec_b64 s[12:13], vcc
	s_cbranch_execz .LBB0_145
; %bb.142:
	s_mov_b64 s[14:15], 0
.LBB0_143:                              ; =>This Inner Loop Header: Depth=1
	s_sleep 1
	global_load_dwordx2 v[5:6], v4, s[6:7] offset:40
	global_load_dwordx2 v[9:10], v4, s[6:7]
	v_mov_b32_e32 v8, v1
	v_mov_b32_e32 v7, v0
	s_waitcnt vmcnt(1)
	v_and_b32_e32 v0, v5, v7
	s_waitcnt vmcnt(0)
	v_mad_u64_u32 v[0:1], s[16:17], v0, 24, v[9:10]
	v_and_b32_e32 v5, v6, v8
	v_mad_u64_u32 v[5:6], s[16:17], v5, 24, v[1:2]
	v_mov_b32_e32 v1, v5
	global_load_dwordx2 v[5:6], v[0:1], off glc
	s_waitcnt vmcnt(0)
	global_atomic_cmpswap_x2 v[0:1], v4, v[5:8], s[6:7] offset:24 glc
	s_waitcnt vmcnt(0)
	buffer_wbinvl1_vol
	v_cmp_eq_u64_e32 vcc, v[0:1], v[7:8]
	s_or_b64 s[14:15], vcc, s[14:15]
	s_andn2_b64 exec, exec, s[14:15]
	s_cbranch_execnz .LBB0_143
; %bb.144:
	s_or_b64 exec, exec, s[14:15]
.LBB0_145:
	s_or_b64 exec, exec, s[12:13]
.LBB0_146:
	s_or_b64 exec, exec, s[10:11]
	s_waitcnt vmcnt(0)
	v_mov_b32_e32 v4, 0
	global_load_dwordx2 v[10:11], v4, s[6:7] offset:40
	global_load_dwordx4 v[6:9], v4, s[6:7]
	v_readfirstlane_b32 s10, v0
	v_readfirstlane_b32 s11, v1
	s_mov_b64 s[12:13], exec
	s_waitcnt vmcnt(1)
	v_readfirstlane_b32 s14, v10
	v_readfirstlane_b32 s15, v11
	s_and_b64 s[14:15], s[10:11], s[14:15]
	s_mul_i32 s16, s15, 24
	s_mul_hi_u32 s17, s14, 24
	s_mul_i32 s18, s14, 24
	s_add_i32 s16, s17, s16
	v_mov_b32_e32 v0, s16
	s_waitcnt vmcnt(0)
	v_add_co_u32_e32 v10, vcc, s18, v6
	v_addc_co_u32_e32 v11, vcc, v7, v0, vcc
	s_and_saveexec_b64 s[16:17], s[4:5]
	s_cbranch_execz .LBB0_148
; %bb.147:
	v_mov_b32_e32 v12, s12
	v_mov_b32_e32 v13, s13
	;; [unrolled: 1-line block ×4, first 2 shown]
	global_store_dwordx4 v[10:11], v[12:15], off offset:8
.LBB0_148:
	s_or_b64 exec, exec, s[16:17]
	s_lshl_b64 s[12:13], s[14:15], 12
	v_mov_b32_e32 v0, s13
	v_add_co_u32_e32 v1, vcc, s12, v8
	v_addc_co_u32_e32 v0, vcc, v9, v0, vcc
	s_movk_i32 s12, 0xff1d
	v_and_or_b32 v2, v2, s12, 34
	s_mov_b32 s12, 0
	v_mov_b32_e32 v5, v4
	v_readfirstlane_b32 s16, v1
	v_readfirstlane_b32 s17, v0
	s_mov_b32 s13, s12
	s_mov_b32 s14, s12
	;; [unrolled: 1-line block ×3, first 2 shown]
	s_nop 1
	global_store_dwordx4 v34, v[2:5], s[16:17]
	v_mov_b32_e32 v0, s12
	v_mov_b32_e32 v1, s13
	;; [unrolled: 1-line block ×4, first 2 shown]
	global_store_dwordx4 v34, v[0:3], s[16:17] offset:16
	global_store_dwordx4 v34, v[0:3], s[16:17] offset:32
	;; [unrolled: 1-line block ×3, first 2 shown]
	s_and_saveexec_b64 s[12:13], s[4:5]
	s_cbranch_execz .LBB0_156
; %bb.149:
	v_mov_b32_e32 v8, 0
	global_load_dwordx2 v[14:15], v8, s[6:7] offset:32 glc
	global_load_dwordx2 v[0:1], v8, s[6:7] offset:40
	v_mov_b32_e32 v12, s10
	v_mov_b32_e32 v13, s11
	s_waitcnt vmcnt(0)
	v_readfirstlane_b32 s14, v0
	v_readfirstlane_b32 s15, v1
	s_and_b64 s[14:15], s[14:15], s[10:11]
	s_mul_i32 s15, s15, 24
	s_mul_hi_u32 s16, s14, 24
	s_mul_i32 s14, s14, 24
	s_add_i32 s15, s16, s15
	v_mov_b32_e32 v0, s15
	v_add_co_u32_e32 v4, vcc, s14, v6
	v_addc_co_u32_e32 v5, vcc, v7, v0, vcc
	global_store_dwordx2 v[4:5], v[14:15], off
	s_waitcnt vmcnt(0)
	global_atomic_cmpswap_x2 v[2:3], v8, v[12:15], s[6:7] offset:32 glc
	s_waitcnt vmcnt(0)
	v_cmp_ne_u64_e32 vcc, v[2:3], v[14:15]
	s_and_saveexec_b64 s[14:15], vcc
	s_cbranch_execz .LBB0_152
; %bb.150:
	s_mov_b64 s[16:17], 0
.LBB0_151:                              ; =>This Inner Loop Header: Depth=1
	s_sleep 1
	global_store_dwordx2 v[4:5], v[2:3], off
	v_mov_b32_e32 v0, s10
	v_mov_b32_e32 v1, s11
	s_waitcnt vmcnt(0)
	global_atomic_cmpswap_x2 v[0:1], v8, v[0:3], s[6:7] offset:32 glc
	s_waitcnt vmcnt(0)
	v_cmp_eq_u64_e32 vcc, v[0:1], v[2:3]
	v_mov_b32_e32 v3, v1
	s_or_b64 s[16:17], vcc, s[16:17]
	v_mov_b32_e32 v2, v0
	s_andn2_b64 exec, exec, s[16:17]
	s_cbranch_execnz .LBB0_151
.LBB0_152:
	s_or_b64 exec, exec, s[14:15]
	v_mov_b32_e32 v3, 0
	global_load_dwordx2 v[0:1], v3, s[6:7] offset:16
	s_mov_b64 s[14:15], exec
	v_mbcnt_lo_u32_b32 v2, s14, 0
	v_mbcnt_hi_u32_b32 v2, s15, v2
	v_cmp_eq_u32_e32 vcc, 0, v2
	s_and_saveexec_b64 s[16:17], vcc
	s_cbranch_execz .LBB0_154
; %bb.153:
	s_bcnt1_i32_b64 s14, s[14:15]
	v_mov_b32_e32 v2, s14
	s_waitcnt vmcnt(0)
	global_atomic_add_x2 v[0:1], v[2:3], off offset:8
.LBB0_154:
	s_or_b64 exec, exec, s[16:17]
	s_waitcnt vmcnt(0)
	global_load_dwordx2 v[2:3], v[0:1], off offset:16
	s_waitcnt vmcnt(0)
	v_cmp_eq_u64_e32 vcc, 0, v[2:3]
	s_cbranch_vccnz .LBB0_156
; %bb.155:
	global_load_dword v0, v[0:1], off offset:24
	v_mov_b32_e32 v1, 0
	s_waitcnt vmcnt(0)
	global_store_dwordx2 v[2:3], v[0:1], off
	v_and_b32_e32 v0, 0xffffff, v0
	v_readfirstlane_b32 m0, v0
	s_sendmsg sendmsg(MSG_INTERRUPT)
.LBB0_156:
	s_or_b64 exec, exec, s[12:13]
	s_branch .LBB0_160
.LBB0_157:                              ;   in Loop: Header=BB0_160 Depth=1
	s_or_b64 exec, exec, s[12:13]
	v_readfirstlane_b32 s12, v0
	s_cmp_eq_u32 s12, 0
	s_cbranch_scc1 .LBB0_159
; %bb.158:                              ;   in Loop: Header=BB0_160 Depth=1
	s_sleep 1
	s_cbranch_execnz .LBB0_160
	s_branch .LBB0_249
.LBB0_159:
	s_branch .LBB0_249
.LBB0_160:                              ; =>This Inner Loop Header: Depth=1
	v_mov_b32_e32 v0, 1
	s_and_saveexec_b64 s[12:13], s[4:5]
	s_cbranch_execz .LBB0_157
; %bb.161:                              ;   in Loop: Header=BB0_160 Depth=1
	global_load_dword v0, v[10:11], off offset:20 glc
	s_waitcnt vmcnt(0)
	buffer_wbinvl1_vol
	v_and_b32_e32 v0, 1, v0
	s_branch .LBB0_157
.LBB0_162:
	s_waitcnt vmcnt(0)
	v_add_co_u32_e64 v4, s[4:5], -1, v0
	v_addc_co_u32_e64 v5, s[4:5], -1, v1, s[4:5]
.LBB0_163:                              ; =>This Inner Loop Header: Depth=1
	flat_load_ubyte v8, v[4:5] offset:1
	v_add_co_u32_e64 v6, s[4:5], 1, v4
	v_addc_co_u32_e64 v7, s[4:5], 0, v5, s[4:5]
	v_mov_b32_e32 v4, v6
	v_mov_b32_e32 v5, v7
	s_waitcnt vmcnt(0) lgkmcnt(0)
	v_cmp_eq_u16_e64 s[4:5], 0, v8
	s_or_b64 s[10:11], s[4:5], s[10:11]
	s_andn2_b64 exec, exec, s[10:11]
	s_cbranch_execnz .LBB0_163
; %bb.164:
	s_or_b64 exec, exec, s[10:11]
	v_sub_co_u32_e64 v4, s[4:5], v6, v0
	v_subb_co_u32_e64 v5, s[4:5], v7, v1, s[4:5]
	v_add_co_u32_e64 v26, s[4:5], 1, v4
	v_addc_co_u32_e64 v27, s[4:5], 0, v5, s[4:5]
	s_or_b64 exec, exec, s[8:9]
	s_and_saveexec_b64 s[4:5], vcc
	s_xor_b64 s[8:9], exec, s[4:5]
	s_cbranch_execz .LBB0_139
.LBB0_165:
	s_waitcnt vmcnt(0)
	v_and_b32_e32 v2, -3, v2
	s_mov_b64 s[10:11], 0
	s_mov_b32 s20, 0
	v_mov_b32_e32 v29, 0
	s_movk_i32 s21, 0xff1f
	v_mov_b32_e32 v8, 2
	v_mov_b32_e32 v9, 1
	s_branch .LBB0_167
.LBB0_166:                              ;   in Loop: Header=BB0_167 Depth=1
	s_or_b64 exec, exec, s[14:15]
	v_sub_co_u32_e32 v26, vcc, v26, v30
	v_subb_co_u32_e32 v27, vcc, v27, v31, vcc
	v_cmp_eq_u64_e32 vcc, 0, v[26:27]
	s_or_b64 s[10:11], vcc, s[10:11]
	v_add_co_u32_e32 v0, vcc, v0, v30
	v_addc_co_u32_e32 v1, vcc, v1, v31, vcc
	s_andn2_b64 exec, exec, s[10:11]
	s_cbranch_execz .LBB0_253
.LBB0_167:                              ; =>This Loop Header: Depth=1
                                        ;     Child Loop BB0_170 Depth 2
                                        ;     Child Loop BB0_178 Depth 2
	;; [unrolled: 1-line block ×11, first 2 shown]
	v_cmp_gt_u64_e32 vcc, 56, v[26:27]
	v_cmp_gt_u64_e64 s[4:5], 8, v[26:27]
	v_cndmask_b32_e32 v31, 0, v27, vcc
	v_cndmask_b32_e32 v30, 56, v26, vcc
                                        ; implicit-def: $sgpr12
	s_and_saveexec_b64 s[14:15], s[4:5]
	s_xor_b64 s[4:5], exec, s[14:15]
	s_cbranch_execz .LBB0_173
; %bb.168:                              ;   in Loop: Header=BB0_167 Depth=1
	v_cmp_ne_u64_e32 vcc, 0, v[26:27]
	s_waitcnt vmcnt(0)
	v_mov_b32_e32 v4, 0
	v_mov_b32_e32 v5, 0
	s_mov_b64 s[14:15], 0
	s_and_saveexec_b64 s[12:13], vcc
	s_cbranch_execz .LBB0_172
; %bb.169:                              ;   in Loop: Header=BB0_167 Depth=1
	v_lshlrev_b64 v[6:7], 3, v[30:31]
	v_mov_b32_e32 v4, 0
	v_mov_b32_e32 v11, v1
	;; [unrolled: 1-line block ×4, first 2 shown]
	s_mov_b64 s[16:17], 0
.LBB0_170:                              ;   Parent Loop BB0_167 Depth=1
                                        ; =>  This Inner Loop Header: Depth=2
	flat_load_ubyte v7, v[10:11]
	v_mov_b32_e32 v13, s20
	v_add_co_u32_e32 v10, vcc, 1, v10
	v_addc_co_u32_e32 v11, vcc, 0, v11, vcc
	s_waitcnt vmcnt(0) lgkmcnt(0)
	v_and_b32_e32 v12, 0xffff, v7
	v_lshlrev_b64 v[12:13], s16, v[12:13]
	s_add_u32 s16, s16, 8
	s_addc_u32 s17, s17, 0
	v_cmp_eq_u32_e32 vcc, s16, v6
	v_or_b32_e32 v5, v13, v5
	s_or_b64 s[14:15], vcc, s[14:15]
	v_or_b32_e32 v4, v12, v4
	s_andn2_b64 exec, exec, s[14:15]
	s_cbranch_execnz .LBB0_170
; %bb.171:                              ;   in Loop: Header=BB0_167 Depth=1
	s_or_b64 exec, exec, s[14:15]
.LBB0_172:                              ;   in Loop: Header=BB0_167 Depth=1
	s_or_b64 exec, exec, s[12:13]
	s_mov_b32 s12, 0
.LBB0_173:                              ;   in Loop: Header=BB0_167 Depth=1
	s_or_saveexec_b64 s[4:5], s[4:5]
	v_mov_b32_e32 v7, v1
	v_mov_b32_e32 v12, s12
	;; [unrolled: 1-line block ×3, first 2 shown]
	s_xor_b64 exec, exec, s[4:5]
	s_cbranch_execz .LBB0_175
; %bb.174:                              ;   in Loop: Header=BB0_167 Depth=1
	s_waitcnt vmcnt(0)
	flat_load_dwordx2 v[4:5], v[0:1]
	v_add_u32_e32 v12, -8, v30
	s_waitcnt vmcnt(0) lgkmcnt(0)
	v_and_b32_e32 v6, 0xff, v5
	v_and_b32_e32 v7, 0xff00, v5
	;; [unrolled: 1-line block ×4, first 2 shown]
	v_or_b32_e32 v6, v6, v7
	v_or3_b32 v5, v6, v10, v5
	v_add_co_u32_e32 v6, vcc, 8, v0
	v_or3_b32 v4, v4, 0, 0
	v_addc_co_u32_e32 v7, vcc, 0, v1, vcc
.LBB0_175:                              ;   in Loop: Header=BB0_167 Depth=1
	s_or_b64 exec, exec, s[4:5]
	v_cmp_gt_u32_e32 vcc, 8, v12
                                        ; implicit-def: $vgpr10_vgpr11
                                        ; implicit-def: $sgpr12
	s_and_saveexec_b64 s[4:5], vcc
	s_xor_b64 s[4:5], exec, s[4:5]
	s_cbranch_execz .LBB0_181
; %bb.176:                              ;   in Loop: Header=BB0_167 Depth=1
	v_mov_b32_e32 v10, 0
	v_mov_b32_e32 v11, 0
	v_cmp_ne_u32_e32 vcc, 0, v12
	s_and_saveexec_b64 s[12:13], vcc
	s_cbranch_execz .LBB0_180
; %bb.177:                              ;   in Loop: Header=BB0_167 Depth=1
	v_mov_b32_e32 v10, 0
	s_mov_b64 s[14:15], 0
	v_mov_b32_e32 v11, 0
	s_mov_b64 s[16:17], 0
	s_mov_b64 s[18:19], 0
.LBB0_178:                              ;   Parent Loop BB0_167 Depth=1
                                        ; =>  This Inner Loop Header: Depth=2
	v_mov_b32_e32 v14, s19
	v_add_co_u32_e32 v13, vcc, s18, v6
	v_addc_co_u32_e32 v14, vcc, v7, v14, vcc
	flat_load_ubyte v13, v[13:14]
	s_add_u32 s18, s18, 1
	v_mov_b32_e32 v14, s20
	s_addc_u32 s19, s19, 0
	v_cmp_eq_u32_e32 vcc, s18, v12
	s_waitcnt vmcnt(0) lgkmcnt(0)
	v_and_b32_e32 v13, 0xffff, v13
	v_lshlrev_b64 v[13:14], s16, v[13:14]
	s_add_u32 s16, s16, 8
	s_addc_u32 s17, s17, 0
	v_or_b32_e32 v11, v14, v11
	s_or_b64 s[14:15], vcc, s[14:15]
	v_or_b32_e32 v10, v13, v10
	s_andn2_b64 exec, exec, s[14:15]
	s_cbranch_execnz .LBB0_178
; %bb.179:                              ;   in Loop: Header=BB0_167 Depth=1
	s_or_b64 exec, exec, s[14:15]
.LBB0_180:                              ;   in Loop: Header=BB0_167 Depth=1
	s_or_b64 exec, exec, s[12:13]
	s_mov_b32 s12, 0
                                        ; implicit-def: $vgpr12
.LBB0_181:                              ;   in Loop: Header=BB0_167 Depth=1
	s_or_saveexec_b64 s[4:5], s[4:5]
	v_mov_b32_e32 v14, s12
	s_xor_b64 exec, exec, s[4:5]
	s_cbranch_execz .LBB0_183
; %bb.182:                              ;   in Loop: Header=BB0_167 Depth=1
	flat_load_dwordx2 v[10:11], v[6:7]
	v_add_u32_e32 v14, -8, v12
	v_add_co_u32_e32 v6, vcc, 8, v6
	v_addc_co_u32_e32 v7, vcc, 0, v7, vcc
	s_waitcnt vmcnt(0) lgkmcnt(0)
	v_and_b32_e32 v12, 0xff, v11
	v_and_b32_e32 v13, 0xff00, v11
	;; [unrolled: 1-line block ×4, first 2 shown]
	v_or_b32_e32 v12, v12, v13
	v_or3_b32 v10, v10, 0, 0
	v_or3_b32 v11, v12, v15, v11
.LBB0_183:                              ;   in Loop: Header=BB0_167 Depth=1
	s_or_b64 exec, exec, s[4:5]
	v_cmp_gt_u32_e32 vcc, 8, v14
                                        ; implicit-def: $sgpr12
	s_and_saveexec_b64 s[4:5], vcc
	s_xor_b64 s[4:5], exec, s[4:5]
	s_cbranch_execz .LBB0_189
; %bb.184:                              ;   in Loop: Header=BB0_167 Depth=1
	v_mov_b32_e32 v12, 0
	v_mov_b32_e32 v13, 0
	v_cmp_ne_u32_e32 vcc, 0, v14
	s_and_saveexec_b64 s[12:13], vcc
	s_cbranch_execz .LBB0_188
; %bb.185:                              ;   in Loop: Header=BB0_167 Depth=1
	v_mov_b32_e32 v12, 0
	s_mov_b64 s[14:15], 0
	v_mov_b32_e32 v13, 0
	s_mov_b64 s[16:17], 0
	s_mov_b64 s[18:19], 0
.LBB0_186:                              ;   Parent Loop BB0_167 Depth=1
                                        ; =>  This Inner Loop Header: Depth=2
	v_mov_b32_e32 v16, s19
	v_add_co_u32_e32 v15, vcc, s18, v6
	v_addc_co_u32_e32 v16, vcc, v7, v16, vcc
	flat_load_ubyte v15, v[15:16]
	s_add_u32 s18, s18, 1
	v_mov_b32_e32 v16, s20
	s_addc_u32 s19, s19, 0
	v_cmp_eq_u32_e32 vcc, s18, v14
	s_waitcnt vmcnt(0) lgkmcnt(0)
	v_and_b32_e32 v15, 0xffff, v15
	v_lshlrev_b64 v[15:16], s16, v[15:16]
	s_add_u32 s16, s16, 8
	s_addc_u32 s17, s17, 0
	v_or_b32_e32 v13, v16, v13
	s_or_b64 s[14:15], vcc, s[14:15]
	v_or_b32_e32 v12, v15, v12
	s_andn2_b64 exec, exec, s[14:15]
	s_cbranch_execnz .LBB0_186
; %bb.187:                              ;   in Loop: Header=BB0_167 Depth=1
	s_or_b64 exec, exec, s[14:15]
.LBB0_188:                              ;   in Loop: Header=BB0_167 Depth=1
	s_or_b64 exec, exec, s[12:13]
	s_mov_b32 s12, 0
                                        ; implicit-def: $vgpr14
.LBB0_189:                              ;   in Loop: Header=BB0_167 Depth=1
	s_or_saveexec_b64 s[4:5], s[4:5]
	v_mov_b32_e32 v16, s12
	s_xor_b64 exec, exec, s[4:5]
	s_cbranch_execz .LBB0_191
; %bb.190:                              ;   in Loop: Header=BB0_167 Depth=1
	flat_load_dwordx2 v[12:13], v[6:7]
	v_add_u32_e32 v16, -8, v14
	v_add_co_u32_e32 v6, vcc, 8, v6
	v_addc_co_u32_e32 v7, vcc, 0, v7, vcc
	s_waitcnt vmcnt(0) lgkmcnt(0)
	v_and_b32_e32 v14, 0xff, v13
	v_and_b32_e32 v15, 0xff00, v13
	;; [unrolled: 1-line block ×4, first 2 shown]
	v_or_b32_e32 v14, v14, v15
	v_or3_b32 v12, v12, 0, 0
	v_or3_b32 v13, v14, v17, v13
.LBB0_191:                              ;   in Loop: Header=BB0_167 Depth=1
	s_or_b64 exec, exec, s[4:5]
	v_cmp_gt_u32_e32 vcc, 8, v16
                                        ; implicit-def: $vgpr14_vgpr15
                                        ; implicit-def: $sgpr12
	s_and_saveexec_b64 s[4:5], vcc
	s_xor_b64 s[4:5], exec, s[4:5]
	s_cbranch_execz .LBB0_197
; %bb.192:                              ;   in Loop: Header=BB0_167 Depth=1
	v_mov_b32_e32 v14, 0
	v_mov_b32_e32 v15, 0
	v_cmp_ne_u32_e32 vcc, 0, v16
	s_and_saveexec_b64 s[12:13], vcc
	s_cbranch_execz .LBB0_196
; %bb.193:                              ;   in Loop: Header=BB0_167 Depth=1
	v_mov_b32_e32 v14, 0
	s_mov_b64 s[14:15], 0
	v_mov_b32_e32 v15, 0
	s_mov_b64 s[16:17], 0
	s_mov_b64 s[18:19], 0
.LBB0_194:                              ;   Parent Loop BB0_167 Depth=1
                                        ; =>  This Inner Loop Header: Depth=2
	v_mov_b32_e32 v18, s19
	v_add_co_u32_e32 v17, vcc, s18, v6
	v_addc_co_u32_e32 v18, vcc, v7, v18, vcc
	flat_load_ubyte v17, v[17:18]
	s_add_u32 s18, s18, 1
	v_mov_b32_e32 v18, s20
	s_addc_u32 s19, s19, 0
	v_cmp_eq_u32_e32 vcc, s18, v16
	s_waitcnt vmcnt(0) lgkmcnt(0)
	v_and_b32_e32 v17, 0xffff, v17
	v_lshlrev_b64 v[17:18], s16, v[17:18]
	s_add_u32 s16, s16, 8
	s_addc_u32 s17, s17, 0
	v_or_b32_e32 v15, v18, v15
	s_or_b64 s[14:15], vcc, s[14:15]
	v_or_b32_e32 v14, v17, v14
	s_andn2_b64 exec, exec, s[14:15]
	s_cbranch_execnz .LBB0_194
; %bb.195:                              ;   in Loop: Header=BB0_167 Depth=1
	s_or_b64 exec, exec, s[14:15]
.LBB0_196:                              ;   in Loop: Header=BB0_167 Depth=1
	s_or_b64 exec, exec, s[12:13]
	s_mov_b32 s12, 0
                                        ; implicit-def: $vgpr16
.LBB0_197:                              ;   in Loop: Header=BB0_167 Depth=1
	s_or_saveexec_b64 s[4:5], s[4:5]
	v_mov_b32_e32 v18, s12
	s_xor_b64 exec, exec, s[4:5]
	s_cbranch_execz .LBB0_199
; %bb.198:                              ;   in Loop: Header=BB0_167 Depth=1
	flat_load_dwordx2 v[14:15], v[6:7]
	v_add_u32_e32 v18, -8, v16
	v_add_co_u32_e32 v6, vcc, 8, v6
	v_addc_co_u32_e32 v7, vcc, 0, v7, vcc
	s_waitcnt vmcnt(0) lgkmcnt(0)
	v_and_b32_e32 v16, 0xff, v15
	v_and_b32_e32 v17, 0xff00, v15
	;; [unrolled: 1-line block ×4, first 2 shown]
	v_or_b32_e32 v16, v16, v17
	v_or3_b32 v14, v14, 0, 0
	v_or3_b32 v15, v16, v19, v15
.LBB0_199:                              ;   in Loop: Header=BB0_167 Depth=1
	s_or_b64 exec, exec, s[4:5]
	v_cmp_gt_u32_e32 vcc, 8, v18
                                        ; implicit-def: $sgpr12
	s_and_saveexec_b64 s[4:5], vcc
	s_xor_b64 s[4:5], exec, s[4:5]
	s_cbranch_execz .LBB0_205
; %bb.200:                              ;   in Loop: Header=BB0_167 Depth=1
	v_mov_b32_e32 v16, 0
	v_mov_b32_e32 v17, 0
	v_cmp_ne_u32_e32 vcc, 0, v18
	s_and_saveexec_b64 s[12:13], vcc
	s_cbranch_execz .LBB0_204
; %bb.201:                              ;   in Loop: Header=BB0_167 Depth=1
	v_mov_b32_e32 v16, 0
	s_mov_b64 s[14:15], 0
	v_mov_b32_e32 v17, 0
	s_mov_b64 s[16:17], 0
	s_mov_b64 s[18:19], 0
.LBB0_202:                              ;   Parent Loop BB0_167 Depth=1
                                        ; =>  This Inner Loop Header: Depth=2
	v_mov_b32_e32 v20, s19
	v_add_co_u32_e32 v19, vcc, s18, v6
	v_addc_co_u32_e32 v20, vcc, v7, v20, vcc
	flat_load_ubyte v19, v[19:20]
	s_add_u32 s18, s18, 1
	v_mov_b32_e32 v20, s20
	s_addc_u32 s19, s19, 0
	v_cmp_eq_u32_e32 vcc, s18, v18
	s_waitcnt vmcnt(0) lgkmcnt(0)
	v_and_b32_e32 v19, 0xffff, v19
	v_lshlrev_b64 v[19:20], s16, v[19:20]
	s_add_u32 s16, s16, 8
	s_addc_u32 s17, s17, 0
	v_or_b32_e32 v17, v20, v17
	s_or_b64 s[14:15], vcc, s[14:15]
	v_or_b32_e32 v16, v19, v16
	s_andn2_b64 exec, exec, s[14:15]
	s_cbranch_execnz .LBB0_202
; %bb.203:                              ;   in Loop: Header=BB0_167 Depth=1
	s_or_b64 exec, exec, s[14:15]
.LBB0_204:                              ;   in Loop: Header=BB0_167 Depth=1
	s_or_b64 exec, exec, s[12:13]
	s_mov_b32 s12, 0
                                        ; implicit-def: $vgpr18
.LBB0_205:                              ;   in Loop: Header=BB0_167 Depth=1
	s_or_saveexec_b64 s[4:5], s[4:5]
	v_mov_b32_e32 v20, s12
	s_xor_b64 exec, exec, s[4:5]
	s_cbranch_execz .LBB0_207
; %bb.206:                              ;   in Loop: Header=BB0_167 Depth=1
	flat_load_dwordx2 v[16:17], v[6:7]
	v_add_u32_e32 v20, -8, v18
	v_add_co_u32_e32 v6, vcc, 8, v6
	v_addc_co_u32_e32 v7, vcc, 0, v7, vcc
	s_waitcnt vmcnt(0) lgkmcnt(0)
	v_and_b32_e32 v18, 0xff, v17
	v_and_b32_e32 v19, 0xff00, v17
	;; [unrolled: 1-line block ×4, first 2 shown]
	v_or_b32_e32 v18, v18, v19
	v_or3_b32 v16, v16, 0, 0
	v_or3_b32 v17, v18, v21, v17
.LBB0_207:                              ;   in Loop: Header=BB0_167 Depth=1
	s_or_b64 exec, exec, s[4:5]
	v_cmp_gt_u32_e32 vcc, 8, v20
                                        ; implicit-def: $vgpr18_vgpr19
                                        ; implicit-def: $sgpr12
	s_and_saveexec_b64 s[4:5], vcc
	s_xor_b64 s[4:5], exec, s[4:5]
	s_cbranch_execz .LBB0_213
; %bb.208:                              ;   in Loop: Header=BB0_167 Depth=1
	v_mov_b32_e32 v18, 0
	v_mov_b32_e32 v19, 0
	v_cmp_ne_u32_e32 vcc, 0, v20
	s_and_saveexec_b64 s[12:13], vcc
	s_cbranch_execz .LBB0_212
; %bb.209:                              ;   in Loop: Header=BB0_167 Depth=1
	v_mov_b32_e32 v18, 0
	s_mov_b64 s[14:15], 0
	v_mov_b32_e32 v19, 0
	s_mov_b64 s[16:17], 0
	s_mov_b64 s[18:19], 0
.LBB0_210:                              ;   Parent Loop BB0_167 Depth=1
                                        ; =>  This Inner Loop Header: Depth=2
	v_mov_b32_e32 v22, s19
	v_add_co_u32_e32 v21, vcc, s18, v6
	v_addc_co_u32_e32 v22, vcc, v7, v22, vcc
	flat_load_ubyte v21, v[21:22]
	s_add_u32 s18, s18, 1
	v_mov_b32_e32 v22, s20
	s_addc_u32 s19, s19, 0
	v_cmp_eq_u32_e32 vcc, s18, v20
	s_waitcnt vmcnt(0) lgkmcnt(0)
	v_and_b32_e32 v21, 0xffff, v21
	v_lshlrev_b64 v[21:22], s16, v[21:22]
	s_add_u32 s16, s16, 8
	s_addc_u32 s17, s17, 0
	v_or_b32_e32 v19, v22, v19
	s_or_b64 s[14:15], vcc, s[14:15]
	v_or_b32_e32 v18, v21, v18
	s_andn2_b64 exec, exec, s[14:15]
	s_cbranch_execnz .LBB0_210
; %bb.211:                              ;   in Loop: Header=BB0_167 Depth=1
	s_or_b64 exec, exec, s[14:15]
.LBB0_212:                              ;   in Loop: Header=BB0_167 Depth=1
	s_or_b64 exec, exec, s[12:13]
	s_mov_b32 s12, 0
                                        ; implicit-def: $vgpr20
.LBB0_213:                              ;   in Loop: Header=BB0_167 Depth=1
	s_or_saveexec_b64 s[4:5], s[4:5]
	v_mov_b32_e32 v22, s12
	s_xor_b64 exec, exec, s[4:5]
	s_cbranch_execz .LBB0_215
; %bb.214:                              ;   in Loop: Header=BB0_167 Depth=1
	flat_load_dwordx2 v[18:19], v[6:7]
	v_add_u32_e32 v22, -8, v20
	v_add_co_u32_e32 v6, vcc, 8, v6
	v_addc_co_u32_e32 v7, vcc, 0, v7, vcc
	s_waitcnt vmcnt(0) lgkmcnt(0)
	v_and_b32_e32 v20, 0xff, v19
	v_and_b32_e32 v21, 0xff00, v19
	v_and_b32_e32 v23, 0xff0000, v19
	v_and_b32_e32 v19, 0xff000000, v19
	v_or_b32_e32 v20, v20, v21
	v_or3_b32 v18, v18, 0, 0
	v_or3_b32 v19, v20, v23, v19
.LBB0_215:                              ;   in Loop: Header=BB0_167 Depth=1
	s_or_b64 exec, exec, s[4:5]
	v_cmp_gt_u32_e32 vcc, 8, v22
	s_and_saveexec_b64 s[4:5], vcc
	s_xor_b64 s[4:5], exec, s[4:5]
	s_cbranch_execz .LBB0_221
; %bb.216:                              ;   in Loop: Header=BB0_167 Depth=1
	v_mov_b32_e32 v20, 0
	v_mov_b32_e32 v21, 0
	v_cmp_ne_u32_e32 vcc, 0, v22
	s_and_saveexec_b64 s[12:13], vcc
	s_cbranch_execz .LBB0_220
; %bb.217:                              ;   in Loop: Header=BB0_167 Depth=1
	v_mov_b32_e32 v20, 0
	s_mov_b64 s[14:15], 0
	v_mov_b32_e32 v21, 0
	s_mov_b64 s[16:17], 0
.LBB0_218:                              ;   Parent Loop BB0_167 Depth=1
                                        ; =>  This Inner Loop Header: Depth=2
	flat_load_ubyte v23, v[6:7]
	v_mov_b32_e32 v24, s20
	v_add_co_u32_e32 v6, vcc, 1, v6
	v_add_u32_e32 v22, -1, v22
	v_addc_co_u32_e32 v7, vcc, 0, v7, vcc
	v_cmp_eq_u32_e32 vcc, 0, v22
	s_waitcnt vmcnt(0) lgkmcnt(0)
	v_and_b32_e32 v23, 0xffff, v23
	v_lshlrev_b64 v[23:24], s16, v[23:24]
	s_add_u32 s16, s16, 8
	s_addc_u32 s17, s17, 0
	v_or_b32_e32 v21, v24, v21
	s_or_b64 s[14:15], vcc, s[14:15]
	v_or_b32_e32 v20, v23, v20
	s_andn2_b64 exec, exec, s[14:15]
	s_cbranch_execnz .LBB0_218
; %bb.219:                              ;   in Loop: Header=BB0_167 Depth=1
	s_or_b64 exec, exec, s[14:15]
.LBB0_220:                              ;   in Loop: Header=BB0_167 Depth=1
	s_or_b64 exec, exec, s[12:13]
                                        ; implicit-def: $vgpr6_vgpr7
.LBB0_221:                              ;   in Loop: Header=BB0_167 Depth=1
	s_andn2_saveexec_b64 s[4:5], s[4:5]
	s_cbranch_execz .LBB0_223
; %bb.222:                              ;   in Loop: Header=BB0_167 Depth=1
	flat_load_dwordx2 v[6:7], v[6:7]
	s_waitcnt vmcnt(0) lgkmcnt(0)
	v_and_b32_e32 v20, 0xff, v7
	v_and_b32_e32 v21, 0xff00, v7
	;; [unrolled: 1-line block ×4, first 2 shown]
	v_or_b32_e32 v20, v20, v21
	v_or3_b32 v21, v20, v22, v7
	v_or3_b32 v20, v6, 0, 0
.LBB0_223:                              ;   in Loop: Header=BB0_167 Depth=1
	s_or_b64 exec, exec, s[4:5]
	v_readfirstlane_b32 s4, v35
	v_mov_b32_e32 v6, 0
	v_mov_b32_e32 v7, 0
	v_cmp_eq_u32_e64 s[4:5], s4, v35
	s_and_saveexec_b64 s[12:13], s[4:5]
	s_cbranch_execz .LBB0_229
; %bb.224:                              ;   in Loop: Header=BB0_167 Depth=1
	global_load_dwordx2 v[24:25], v29, s[6:7] offset:24 glc
	s_waitcnt vmcnt(0)
	buffer_wbinvl1_vol
	global_load_dwordx2 v[6:7], v29, s[6:7] offset:40
	global_load_dwordx2 v[22:23], v29, s[6:7]
	s_waitcnt vmcnt(1)
	v_and_b32_e32 v6, v6, v24
	v_and_b32_e32 v7, v7, v25
	v_mul_lo_u32 v7, v7, 24
	v_mul_hi_u32 v28, v6, 24
	v_mul_lo_u32 v6, v6, 24
	v_add_u32_e32 v7, v28, v7
	s_waitcnt vmcnt(0)
	v_add_co_u32_e32 v6, vcc, v22, v6
	v_addc_co_u32_e32 v7, vcc, v23, v7, vcc
	global_load_dwordx2 v[22:23], v[6:7], off glc
	s_waitcnt vmcnt(0)
	global_atomic_cmpswap_x2 v[6:7], v29, v[22:25], s[6:7] offset:24 glc
	s_waitcnt vmcnt(0)
	buffer_wbinvl1_vol
	v_cmp_ne_u64_e32 vcc, v[6:7], v[24:25]
	s_and_saveexec_b64 s[14:15], vcc
	s_cbranch_execz .LBB0_228
; %bb.225:                              ;   in Loop: Header=BB0_167 Depth=1
	s_mov_b64 s[16:17], 0
.LBB0_226:                              ;   Parent Loop BB0_167 Depth=1
                                        ; =>  This Inner Loop Header: Depth=2
	s_sleep 1
	global_load_dwordx2 v[22:23], v29, s[6:7] offset:40
	global_load_dwordx2 v[32:33], v29, s[6:7]
	v_mov_b32_e32 v25, v7
	v_mov_b32_e32 v24, v6
	s_waitcnt vmcnt(1)
	v_and_b32_e32 v6, v22, v24
	s_waitcnt vmcnt(0)
	v_mad_u64_u32 v[6:7], s[18:19], v6, 24, v[32:33]
	v_and_b32_e32 v22, v23, v25
	v_mad_u64_u32 v[22:23], s[18:19], v22, 24, v[7:8]
	v_mov_b32_e32 v7, v22
	global_load_dwordx2 v[22:23], v[6:7], off glc
	s_waitcnt vmcnt(0)
	global_atomic_cmpswap_x2 v[6:7], v29, v[22:25], s[6:7] offset:24 glc
	s_waitcnt vmcnt(0)
	buffer_wbinvl1_vol
	v_cmp_eq_u64_e32 vcc, v[6:7], v[24:25]
	s_or_b64 s[16:17], vcc, s[16:17]
	s_andn2_b64 exec, exec, s[16:17]
	s_cbranch_execnz .LBB0_226
; %bb.227:                              ;   in Loop: Header=BB0_167 Depth=1
	s_or_b64 exec, exec, s[16:17]
.LBB0_228:                              ;   in Loop: Header=BB0_167 Depth=1
	s_or_b64 exec, exec, s[14:15]
.LBB0_229:                              ;   in Loop: Header=BB0_167 Depth=1
	s_or_b64 exec, exec, s[12:13]
	global_load_dwordx2 v[32:33], v29, s[6:7] offset:40
	global_load_dwordx4 v[22:25], v29, s[6:7]
	v_readfirstlane_b32 s12, v6
	v_readfirstlane_b32 s13, v7
	s_mov_b64 s[14:15], exec
	s_waitcnt vmcnt(1)
	v_readfirstlane_b32 s16, v32
	v_readfirstlane_b32 s17, v33
	s_and_b64 s[16:17], s[12:13], s[16:17]
	s_mul_i32 s18, s17, 24
	s_mul_hi_u32 s19, s16, 24
	s_mul_i32 s22, s16, 24
	s_add_i32 s18, s19, s18
	v_mov_b32_e32 v6, s18
	s_waitcnt vmcnt(0)
	v_add_co_u32_e32 v32, vcc, s22, v22
	v_addc_co_u32_e32 v33, vcc, v23, v6, vcc
	s_and_saveexec_b64 s[18:19], s[4:5]
	s_cbranch_execz .LBB0_231
; %bb.230:                              ;   in Loop: Header=BB0_167 Depth=1
	v_mov_b32_e32 v6, s14
	v_mov_b32_e32 v7, s15
	global_store_dwordx4 v[32:33], v[6:9], off offset:8
.LBB0_231:                              ;   in Loop: Header=BB0_167 Depth=1
	s_or_b64 exec, exec, s[18:19]
	s_lshl_b64 s[14:15], s[16:17], 12
	v_mov_b32_e32 v6, s15
	v_add_co_u32_e32 v24, vcc, s14, v24
	v_addc_co_u32_e32 v25, vcc, v25, v6, vcc
	v_cmp_lt_u64_e32 vcc, 56, v[26:27]
	v_or_b32_e32 v6, 2, v2
	v_cndmask_b32_e32 v2, v6, v2, vcc
	v_lshl_add_u32 v6, v30, 2, 28
	v_and_b32_e32 v6, 0x1e0, v6
	v_and_or_b32 v2, v2, s21, v6
	v_readfirstlane_b32 s14, v24
	v_readfirstlane_b32 s15, v25
	s_nop 4
	global_store_dwordx4 v34, v[2:5], s[14:15]
	global_store_dwordx4 v34, v[10:13], s[14:15] offset:16
	global_store_dwordx4 v34, v[14:17], s[14:15] offset:32
	;; [unrolled: 1-line block ×3, first 2 shown]
	s_and_saveexec_b64 s[14:15], s[4:5]
	s_cbranch_execz .LBB0_239
; %bb.232:                              ;   in Loop: Header=BB0_167 Depth=1
	global_load_dwordx2 v[12:13], v29, s[6:7] offset:32 glc
	global_load_dwordx2 v[2:3], v29, s[6:7] offset:40
	v_mov_b32_e32 v10, s12
	v_mov_b32_e32 v11, s13
	s_waitcnt vmcnt(0)
	v_readfirstlane_b32 s16, v2
	v_readfirstlane_b32 s17, v3
	s_and_b64 s[16:17], s[16:17], s[12:13]
	s_mul_i32 s17, s17, 24
	s_mul_hi_u32 s18, s16, 24
	s_mul_i32 s16, s16, 24
	s_add_i32 s17, s18, s17
	v_mov_b32_e32 v2, s17
	v_add_co_u32_e32 v6, vcc, s16, v22
	v_addc_co_u32_e32 v7, vcc, v23, v2, vcc
	global_store_dwordx2 v[6:7], v[12:13], off
	s_waitcnt vmcnt(0)
	global_atomic_cmpswap_x2 v[4:5], v29, v[10:13], s[6:7] offset:32 glc
	s_waitcnt vmcnt(0)
	v_cmp_ne_u64_e32 vcc, v[4:5], v[12:13]
	s_and_saveexec_b64 s[16:17], vcc
	s_cbranch_execz .LBB0_235
; %bb.233:                              ;   in Loop: Header=BB0_167 Depth=1
	s_mov_b64 s[18:19], 0
.LBB0_234:                              ;   Parent Loop BB0_167 Depth=1
                                        ; =>  This Inner Loop Header: Depth=2
	s_sleep 1
	global_store_dwordx2 v[6:7], v[4:5], off
	v_mov_b32_e32 v2, s12
	v_mov_b32_e32 v3, s13
	s_waitcnt vmcnt(0)
	global_atomic_cmpswap_x2 v[2:3], v29, v[2:5], s[6:7] offset:32 glc
	s_waitcnt vmcnt(0)
	v_cmp_eq_u64_e32 vcc, v[2:3], v[4:5]
	v_mov_b32_e32 v5, v3
	s_or_b64 s[18:19], vcc, s[18:19]
	v_mov_b32_e32 v4, v2
	s_andn2_b64 exec, exec, s[18:19]
	s_cbranch_execnz .LBB0_234
.LBB0_235:                              ;   in Loop: Header=BB0_167 Depth=1
	s_or_b64 exec, exec, s[16:17]
	global_load_dwordx2 v[2:3], v29, s[6:7] offset:16
	s_mov_b64 s[18:19], exec
	v_mbcnt_lo_u32_b32 v4, s18, 0
	v_mbcnt_hi_u32_b32 v4, s19, v4
	v_cmp_eq_u32_e32 vcc, 0, v4
	s_and_saveexec_b64 s[16:17], vcc
	s_cbranch_execz .LBB0_237
; %bb.236:                              ;   in Loop: Header=BB0_167 Depth=1
	s_bcnt1_i32_b64 s18, s[18:19]
	v_mov_b32_e32 v28, s18
	s_waitcnt vmcnt(0)
	global_atomic_add_x2 v[2:3], v[28:29], off offset:8
.LBB0_237:                              ;   in Loop: Header=BB0_167 Depth=1
	s_or_b64 exec, exec, s[16:17]
	s_waitcnt vmcnt(0)
	global_load_dwordx2 v[4:5], v[2:3], off offset:16
	s_waitcnt vmcnt(0)
	v_cmp_eq_u64_e32 vcc, 0, v[4:5]
	s_cbranch_vccnz .LBB0_239
; %bb.238:                              ;   in Loop: Header=BB0_167 Depth=1
	global_load_dword v28, v[2:3], off offset:24
	s_waitcnt vmcnt(0)
	v_and_b32_e32 v2, 0xffffff, v28
	v_readfirstlane_b32 m0, v2
	global_store_dwordx2 v[4:5], v[28:29], off
	s_sendmsg sendmsg(MSG_INTERRUPT)
.LBB0_239:                              ;   in Loop: Header=BB0_167 Depth=1
	s_or_b64 exec, exec, s[14:15]
	v_add_co_u32_e32 v2, vcc, v24, v34
	v_addc_co_u32_e32 v3, vcc, 0, v25, vcc
	s_branch .LBB0_243
.LBB0_240:                              ;   in Loop: Header=BB0_243 Depth=2
	s_or_b64 exec, exec, s[14:15]
	v_readfirstlane_b32 s14, v4
	s_cmp_eq_u32 s14, 0
	s_cbranch_scc1 .LBB0_242
; %bb.241:                              ;   in Loop: Header=BB0_243 Depth=2
	s_sleep 1
	s_cbranch_execnz .LBB0_243
	s_branch .LBB0_245
.LBB0_242:                              ;   in Loop: Header=BB0_167 Depth=1
	s_branch .LBB0_245
.LBB0_243:                              ;   Parent Loop BB0_167 Depth=1
                                        ; =>  This Inner Loop Header: Depth=2
	v_mov_b32_e32 v4, 1
	s_and_saveexec_b64 s[14:15], s[4:5]
	s_cbranch_execz .LBB0_240
; %bb.244:                              ;   in Loop: Header=BB0_243 Depth=2
	global_load_dword v4, v[32:33], off offset:20 glc
	s_waitcnt vmcnt(0)
	buffer_wbinvl1_vol
	v_and_b32_e32 v4, 1, v4
	s_branch .LBB0_240
.LBB0_245:                              ;   in Loop: Header=BB0_167 Depth=1
	global_load_dwordx4 v[2:5], v[2:3], off
	s_and_saveexec_b64 s[14:15], s[4:5]
	s_cbranch_execz .LBB0_166
; %bb.246:                              ;   in Loop: Header=BB0_167 Depth=1
	global_load_dwordx2 v[6:7], v29, s[6:7] offset:40
	global_load_dwordx2 v[12:13], v29, s[6:7] offset:24 glc
	global_load_dwordx2 v[10:11], v29, s[6:7]
	s_waitcnt vmcnt(3)
	v_mov_b32_e32 v5, s13
	s_waitcnt vmcnt(2)
	v_add_co_u32_e32 v14, vcc, 1, v6
	v_addc_co_u32_e32 v15, vcc, 0, v7, vcc
	v_add_co_u32_e32 v4, vcc, s12, v14
	v_addc_co_u32_e32 v5, vcc, v15, v5, vcc
	v_cmp_eq_u64_e32 vcc, 0, v[4:5]
	v_cndmask_b32_e32 v5, v5, v15, vcc
	v_cndmask_b32_e32 v4, v4, v14, vcc
	v_and_b32_e32 v7, v5, v7
	v_and_b32_e32 v6, v4, v6
	v_mul_lo_u32 v7, v7, 24
	v_mul_hi_u32 v14, v6, 24
	v_mul_lo_u32 v15, v6, 24
	s_waitcnt vmcnt(1)
	v_mov_b32_e32 v6, v12
	v_add_u32_e32 v7, v14, v7
	s_waitcnt vmcnt(0)
	v_add_co_u32_e32 v10, vcc, v10, v15
	v_addc_co_u32_e32 v11, vcc, v11, v7, vcc
	global_store_dwordx2 v[10:11], v[12:13], off
	v_mov_b32_e32 v7, v13
	s_waitcnt vmcnt(0)
	global_atomic_cmpswap_x2 v[6:7], v29, v[4:7], s[6:7] offset:24 glc
	s_waitcnt vmcnt(0)
	v_cmp_ne_u64_e32 vcc, v[6:7], v[12:13]
	s_and_b64 exec, exec, vcc
	s_cbranch_execz .LBB0_166
; %bb.247:                              ;   in Loop: Header=BB0_167 Depth=1
	s_mov_b64 s[4:5], 0
.LBB0_248:                              ;   Parent Loop BB0_167 Depth=1
                                        ; =>  This Inner Loop Header: Depth=2
	s_sleep 1
	global_store_dwordx2 v[10:11], v[6:7], off
	s_waitcnt vmcnt(0)
	global_atomic_cmpswap_x2 v[12:13], v29, v[4:7], s[6:7] offset:24 glc
	s_waitcnt vmcnt(0)
	v_cmp_eq_u64_e32 vcc, v[12:13], v[6:7]
	v_mov_b32_e32 v6, v12
	s_or_b64 s[4:5], vcc, s[4:5]
	v_mov_b32_e32 v7, v13
	s_andn2_b64 exec, exec, s[4:5]
	s_cbranch_execnz .LBB0_248
	s_branch .LBB0_166
.LBB0_249:
	s_and_saveexec_b64 s[12:13], s[4:5]
	s_cbranch_execz .LBB0_252
; %bb.250:
	v_mov_b32_e32 v6, 0
	global_load_dwordx2 v[2:3], v6, s[6:7] offset:40
	global_load_dwordx2 v[7:8], v6, s[6:7] offset:24 glc
	global_load_dwordx2 v[4:5], v6, s[6:7]
	v_mov_b32_e32 v1, s11
	s_mov_b64 s[4:5], 0
	s_waitcnt vmcnt(2)
	v_add_co_u32_e32 v9, vcc, 1, v2
	v_addc_co_u32_e32 v10, vcc, 0, v3, vcc
	v_add_co_u32_e32 v0, vcc, s10, v9
	v_addc_co_u32_e32 v1, vcc, v10, v1, vcc
	v_cmp_eq_u64_e32 vcc, 0, v[0:1]
	v_cndmask_b32_e32 v1, v1, v10, vcc
	v_cndmask_b32_e32 v0, v0, v9, vcc
	v_and_b32_e32 v3, v1, v3
	v_and_b32_e32 v2, v0, v2
	v_mul_lo_u32 v3, v3, 24
	v_mul_hi_u32 v9, v2, 24
	v_mul_lo_u32 v10, v2, 24
	s_waitcnt vmcnt(1)
	v_mov_b32_e32 v2, v7
	v_add_u32_e32 v3, v9, v3
	s_waitcnt vmcnt(0)
	v_add_co_u32_e32 v4, vcc, v4, v10
	v_addc_co_u32_e32 v5, vcc, v5, v3, vcc
	global_store_dwordx2 v[4:5], v[7:8], off
	v_mov_b32_e32 v3, v8
	s_waitcnt vmcnt(0)
	global_atomic_cmpswap_x2 v[2:3], v6, v[0:3], s[6:7] offset:24 glc
	s_waitcnt vmcnt(0)
	v_cmp_ne_u64_e32 vcc, v[2:3], v[7:8]
	s_and_b64 exec, exec, vcc
	s_cbranch_execz .LBB0_252
.LBB0_251:                              ; =>This Inner Loop Header: Depth=1
	s_sleep 1
	global_store_dwordx2 v[4:5], v[2:3], off
	s_waitcnt vmcnt(0)
	global_atomic_cmpswap_x2 v[7:8], v6, v[0:3], s[6:7] offset:24 glc
	s_waitcnt vmcnt(0)
	v_cmp_eq_u64_e32 vcc, v[7:8], v[2:3]
	v_mov_b32_e32 v2, v7
	s_or_b64 s[4:5], vcc, s[4:5]
	v_mov_b32_e32 v3, v8
	s_andn2_b64 exec, exec, s[4:5]
	s_cbranch_execnz .LBB0_251
.LBB0_252:
	s_or_b64 exec, exec, s[12:13]
	s_or_b64 exec, exec, s[8:9]
	s_waitcnt vmcnt(0) lgkmcnt(0)
	s_setpc_b64 s[30:31]
.LBB0_253:
	s_or_b64 exec, exec, s[10:11]
                                        ; implicit-def: $vgpr2_vgpr3
                                        ; implicit-def: $vgpr34
                                        ; implicit-def: $vgpr35
	s_andn2_saveexec_b64 s[8:9], s[8:9]
	s_cbranch_execnz .LBB0_140
.LBB0_254:
	s_or_b64 exec, exec, s[8:9]
	s_waitcnt vmcnt(0) lgkmcnt(0)
	s_setpc_b64 s[30:31]
.Lfunc_end0:
	.size	_ZNK8migraphx13basic_printerIZNS_4coutEvEUlT_E_ElsEPKc, .Lfunc_end0-_ZNK8migraphx13basic_printerIZNS_4coutEvEUlT_E_ElsEPKc
                                        ; -- End function
	.section	.AMDGPU.csdata,"",@progbits
; Function info:
; codeLenInByte = 8900
; NumSgprs: 36
; NumVgprs: 36
; ScratchSize: 0
; MemoryBound: 0
	.text
	.p2align	2                               ; -- Begin function _ZN8migraphx4testlsIKNS_13basic_printerIZNS_4coutEvEUlT_E_EEEERS3_S7_RKNS0_10expressionINS0_14lhs_expressionIRiNS0_3nopEEEiNS0_5equalEEE
	.type	_ZN8migraphx4testlsIKNS_13basic_printerIZNS_4coutEvEUlT_E_EEEERS3_S7_RKNS0_10expressionINS0_14lhs_expressionIRiNS0_3nopEEEiNS0_5equalEEE,@function
_ZN8migraphx4testlsIKNS_13basic_printerIZNS_4coutEvEUlT_E_EEEERS3_S7_RKNS0_10expressionINS0_14lhs_expressionIRiNS0_3nopEEEiNS0_5equalEEE: ; @_ZN8migraphx4testlsIKNS_13basic_printerIZNS_4coutEvEUlT_E_EEEERS3_S7_RKNS0_10expressionINS0_14lhs_expressionIRiNS0_3nopEEEiNS0_5equalEEE
; %bb.0:
	s_waitcnt vmcnt(0) expcnt(0) lgkmcnt(0)
	s_mov_b32 s23, s33
	s_mov_b32 s33, s32
	s_or_saveexec_b64 s[4:5], -1
	buffer_store_dword v40, off, s[0:3], s33 ; 4-byte Folded Spill
	s_mov_b64 exec, s[4:5]
	s_addk_i32 s32, 0x400
	v_writelane_b32 v40, s34, 0
	v_writelane_b32 v40, s35, 1
	;; [unrolled: 1-line block ×6, first 2 shown]
	v_mov_b32_e32 v37, v1
	v_mov_b32_e32 v36, v0
	flat_load_dwordx2 v[0:1], v[36:37]
	s_load_dwordx2 s[26:27], s[8:9], 0x50
	v_mov_b32_e32 v5, 0
	s_mov_b64 s[24:25], s[8:9]
	v_mov_b32_e32 v6, 0
	s_waitcnt vmcnt(0) lgkmcnt(0)
	flat_load_dword v31, v[0:1]
	v_mbcnt_lo_u32_b32 v0, -1, 0
	v_mbcnt_hi_u32_b32 v39, -1, v0
	v_readfirstlane_b32 s4, v39
	v_cmp_eq_u32_e64 s[4:5], s4, v39
	s_and_saveexec_b64 s[6:7], s[4:5]
	s_cbranch_execz .LBB1_6
; %bb.1:
	v_mov_b32_e32 v0, 0
	global_load_dwordx2 v[3:4], v0, s[26:27] offset:24 glc
	s_waitcnt vmcnt(0)
	buffer_wbinvl1_vol
	global_load_dwordx2 v[1:2], v0, s[26:27] offset:40
	global_load_dwordx2 v[5:6], v0, s[26:27]
	s_waitcnt vmcnt(0)
	v_and_b32_e32 v1, v1, v3
	v_and_b32_e32 v2, v2, v4
	v_mul_lo_u32 v2, v2, 24
	v_mul_hi_u32 v7, v1, 24
	v_mul_lo_u32 v1, v1, 24
	v_add_u32_e32 v2, v7, v2
	v_add_co_u32_e32 v1, vcc, v5, v1
	v_addc_co_u32_e32 v2, vcc, v6, v2, vcc
	global_load_dwordx2 v[1:2], v[1:2], off glc
	s_waitcnt vmcnt(0)
	global_atomic_cmpswap_x2 v[5:6], v0, v[1:4], s[26:27] offset:24 glc
	s_waitcnt vmcnt(0)
	buffer_wbinvl1_vol
	v_cmp_ne_u64_e32 vcc, v[5:6], v[3:4]
	s_and_saveexec_b64 s[10:11], vcc
	s_cbranch_execz .LBB1_5
; %bb.2:
	s_mov_b64 s[12:13], 0
.LBB1_3:                                ; =>This Inner Loop Header: Depth=1
	s_sleep 1
	global_load_dwordx2 v[1:2], v0, s[26:27] offset:40
	global_load_dwordx2 v[7:8], v0, s[26:27]
	v_mov_b32_e32 v3, v5
	v_mov_b32_e32 v4, v6
	s_waitcnt vmcnt(0)
	v_and_b32_e32 v1, v1, v3
	v_mad_u64_u32 v[5:6], s[14:15], v1, 24, v[7:8]
	v_and_b32_e32 v2, v2, v4
	v_mov_b32_e32 v1, v6
	v_mad_u64_u32 v[1:2], s[14:15], v2, 24, v[1:2]
	v_mov_b32_e32 v6, v1
	global_load_dwordx2 v[1:2], v[5:6], off glc
	s_waitcnt vmcnt(0)
	global_atomic_cmpswap_x2 v[5:6], v0, v[1:4], s[26:27] offset:24 glc
	s_waitcnt vmcnt(0)
	buffer_wbinvl1_vol
	v_cmp_eq_u64_e32 vcc, v[5:6], v[3:4]
	s_or_b64 s[12:13], vcc, s[12:13]
	s_andn2_b64 exec, exec, s[12:13]
	s_cbranch_execnz .LBB1_3
; %bb.4:
	s_or_b64 exec, exec, s[12:13]
.LBB1_5:
	s_or_b64 exec, exec, s[10:11]
.LBB1_6:
	s_or_b64 exec, exec, s[6:7]
	v_mov_b32_e32 v4, 0
	global_load_dwordx2 v[7:8], v4, s[26:27] offset:40
	global_load_dwordx4 v[0:3], v4, s[26:27]
	v_readfirstlane_b32 s6, v5
	v_readfirstlane_b32 s7, v6
	s_mov_b64 s[10:11], exec
	s_waitcnt vmcnt(0)
	v_readfirstlane_b32 s12, v7
	v_readfirstlane_b32 s13, v8
	s_and_b64 s[12:13], s[6:7], s[12:13]
	s_mul_i32 s14, s13, 24
	s_mul_hi_u32 s15, s12, 24
	s_mul_i32 s16, s12, 24
	s_add_i32 s14, s15, s14
	v_mov_b32_e32 v5, s14
	v_add_co_u32_e32 v7, vcc, s16, v0
	v_addc_co_u32_e32 v8, vcc, v1, v5, vcc
	s_and_saveexec_b64 s[14:15], s[4:5]
	s_cbranch_execz .LBB1_8
; %bb.7:
	v_mov_b32_e32 v9, s10
	v_mov_b32_e32 v10, s11
	;; [unrolled: 1-line block ×4, first 2 shown]
	global_store_dwordx4 v[7:8], v[9:12], off offset:8
.LBB1_8:
	s_or_b64 exec, exec, s[14:15]
	s_lshl_b64 s[10:11], s[12:13], 12
	v_mov_b32_e32 v5, s11
	v_add_co_u32_e32 v2, vcc, s10, v2
	v_addc_co_u32_e32 v11, vcc, v3, v5, vcc
	s_mov_b32 s12, 0
	v_lshlrev_b32_e32 v38, 6, v39
	v_mov_b32_e32 v3, 33
	v_mov_b32_e32 v5, v4
	;; [unrolled: 1-line block ×3, first 2 shown]
	v_readfirstlane_b32 s10, v2
	v_readfirstlane_b32 s11, v11
	v_add_co_u32_e32 v9, vcc, v2, v38
	s_mov_b32 s13, s12
	s_mov_b32 s14, s12
	;; [unrolled: 1-line block ×3, first 2 shown]
	s_nop 0
	global_store_dwordx4 v38, v[3:6], s[10:11]
	v_mov_b32_e32 v2, s12
	v_addc_co_u32_e32 v10, vcc, 0, v11, vcc
	v_mov_b32_e32 v3, s13
	v_mov_b32_e32 v4, s14
	;; [unrolled: 1-line block ×3, first 2 shown]
	global_store_dwordx4 v38, v[2:5], s[10:11] offset:16
	global_store_dwordx4 v38, v[2:5], s[10:11] offset:32
	;; [unrolled: 1-line block ×3, first 2 shown]
	s_and_saveexec_b64 s[10:11], s[4:5]
	s_cbranch_execz .LBB1_16
; %bb.9:
	v_mov_b32_e32 v6, 0
	global_load_dwordx2 v[13:14], v6, s[26:27] offset:32 glc
	global_load_dwordx2 v[2:3], v6, s[26:27] offset:40
	v_mov_b32_e32 v11, s6
	v_mov_b32_e32 v12, s7
	s_waitcnt vmcnt(0)
	v_and_b32_e32 v2, s6, v2
	v_and_b32_e32 v3, s7, v3
	v_mul_lo_u32 v3, v3, 24
	v_mul_hi_u32 v4, v2, 24
	v_mul_lo_u32 v2, v2, 24
	v_add_u32_e32 v3, v4, v3
	v_add_co_u32_e32 v4, vcc, v0, v2
	v_addc_co_u32_e32 v5, vcc, v1, v3, vcc
	global_store_dwordx2 v[4:5], v[13:14], off
	s_waitcnt vmcnt(0)
	global_atomic_cmpswap_x2 v[2:3], v6, v[11:14], s[26:27] offset:32 glc
	s_waitcnt vmcnt(0)
	v_cmp_ne_u64_e32 vcc, v[2:3], v[13:14]
	s_and_saveexec_b64 s[12:13], vcc
	s_cbranch_execz .LBB1_12
; %bb.10:
	s_mov_b64 s[14:15], 0
.LBB1_11:                               ; =>This Inner Loop Header: Depth=1
	s_sleep 1
	global_store_dwordx2 v[4:5], v[2:3], off
	v_mov_b32_e32 v0, s6
	v_mov_b32_e32 v1, s7
	s_waitcnt vmcnt(0)
	global_atomic_cmpswap_x2 v[0:1], v6, v[0:3], s[26:27] offset:32 glc
	s_waitcnt vmcnt(0)
	v_cmp_eq_u64_e32 vcc, v[0:1], v[2:3]
	v_mov_b32_e32 v3, v1
	s_or_b64 s[14:15], vcc, s[14:15]
	v_mov_b32_e32 v2, v0
	s_andn2_b64 exec, exec, s[14:15]
	s_cbranch_execnz .LBB1_11
.LBB1_12:
	s_or_b64 exec, exec, s[12:13]
	v_mov_b32_e32 v3, 0
	global_load_dwordx2 v[0:1], v3, s[26:27] offset:16
	s_mov_b64 s[12:13], exec
	v_mbcnt_lo_u32_b32 v2, s12, 0
	v_mbcnt_hi_u32_b32 v2, s13, v2
	v_cmp_eq_u32_e32 vcc, 0, v2
	s_and_saveexec_b64 s[14:15], vcc
	s_cbranch_execz .LBB1_14
; %bb.13:
	s_bcnt1_i32_b64 s12, s[12:13]
	v_mov_b32_e32 v2, s12
	s_waitcnt vmcnt(0)
	global_atomic_add_x2 v[0:1], v[2:3], off offset:8
.LBB1_14:
	s_or_b64 exec, exec, s[14:15]
	s_waitcnt vmcnt(0)
	global_load_dwordx2 v[2:3], v[0:1], off offset:16
	s_waitcnt vmcnt(0)
	v_cmp_eq_u64_e32 vcc, 0, v[2:3]
	s_cbranch_vccnz .LBB1_16
; %bb.15:
	global_load_dword v0, v[0:1], off offset:24
	v_mov_b32_e32 v1, 0
	s_waitcnt vmcnt(0)
	global_store_dwordx2 v[2:3], v[0:1], off
	v_and_b32_e32 v0, 0xffffff, v0
	v_readfirstlane_b32 m0, v0
	s_sendmsg sendmsg(MSG_INTERRUPT)
.LBB1_16:
	s_or_b64 exec, exec, s[10:11]
	s_branch .LBB1_20
.LBB1_17:                               ;   in Loop: Header=BB1_20 Depth=1
	s_or_b64 exec, exec, s[10:11]
	v_readfirstlane_b32 s10, v0
	s_cmp_eq_u32 s10, 0
	s_cbranch_scc1 .LBB1_19
; %bb.18:                               ;   in Loop: Header=BB1_20 Depth=1
	s_sleep 1
	s_cbranch_execnz .LBB1_20
	s_branch .LBB1_22
.LBB1_19:
	s_branch .LBB1_22
.LBB1_20:                               ; =>This Inner Loop Header: Depth=1
	v_mov_b32_e32 v0, 1
	s_and_saveexec_b64 s[10:11], s[4:5]
	s_cbranch_execz .LBB1_17
; %bb.21:                               ;   in Loop: Header=BB1_20 Depth=1
	global_load_dword v0, v[7:8], off offset:20 glc
	s_waitcnt vmcnt(0)
	buffer_wbinvl1_vol
	v_and_b32_e32 v0, 1, v0
	s_branch .LBB1_17
.LBB1_22:
	global_load_dwordx2 v[0:1], v[9:10], off
	s_and_saveexec_b64 s[10:11], s[4:5]
	s_cbranch_execz .LBB1_25
; %bb.23:
	v_mov_b32_e32 v8, 0
	global_load_dwordx2 v[4:5], v8, s[26:27] offset:40
	global_load_dwordx2 v[9:10], v8, s[26:27] offset:24 glc
	global_load_dwordx2 v[6:7], v8, s[26:27]
	v_mov_b32_e32 v3, s7
	s_mov_b64 s[4:5], 0
	s_waitcnt vmcnt(0)
	v_add_co_u32_e32 v11, vcc, 1, v4
	v_addc_co_u32_e32 v12, vcc, 0, v5, vcc
	v_add_co_u32_e32 v2, vcc, s6, v11
	v_addc_co_u32_e32 v3, vcc, v12, v3, vcc
	v_cmp_eq_u64_e32 vcc, 0, v[2:3]
	v_cndmask_b32_e32 v3, v3, v12, vcc
	v_cndmask_b32_e32 v2, v2, v11, vcc
	v_and_b32_e32 v5, v3, v5
	v_and_b32_e32 v4, v2, v4
	v_mul_lo_u32 v5, v5, 24
	v_mul_hi_u32 v11, v4, 24
	v_mul_lo_u32 v12, v4, 24
	v_mov_b32_e32 v4, v9
	v_add_u32_e32 v5, v11, v5
	v_add_co_u32_e32 v6, vcc, v6, v12
	v_addc_co_u32_e32 v7, vcc, v7, v5, vcc
	global_store_dwordx2 v[6:7], v[9:10], off
	v_mov_b32_e32 v5, v10
	s_waitcnt vmcnt(0)
	global_atomic_cmpswap_x2 v[4:5], v8, v[2:5], s[26:27] offset:24 glc
	s_waitcnt vmcnt(0)
	v_cmp_ne_u64_e32 vcc, v[4:5], v[9:10]
	s_and_b64 exec, exec, vcc
	s_cbranch_execz .LBB1_25
.LBB1_24:                               ; =>This Inner Loop Header: Depth=1
	s_sleep 1
	global_store_dwordx2 v[6:7], v[4:5], off
	s_waitcnt vmcnt(0)
	global_atomic_cmpswap_x2 v[9:10], v8, v[2:5], s[26:27] offset:24 glc
	s_waitcnt vmcnt(0)
	v_cmp_eq_u64_e32 vcc, v[9:10], v[4:5]
	v_mov_b32_e32 v4, v9
	s_or_b64 s[4:5], vcc, s[4:5]
	v_mov_b32_e32 v5, v10
	s_andn2_b64 exec, exec, s[4:5]
	s_cbranch_execnz .LBB1_24
.LBB1_25:
	s_or_b64 exec, exec, s[10:11]
	s_getpc_b64 s[6:7]
	s_add_u32 s6, s6, .str.7@rel32@lo+4
	s_addc_u32 s7, s7, .str.7@rel32@hi+12
	s_cmp_lg_u64 s[6:7], 0
	s_cselect_b64 s[28:29], -1, 0
	s_and_b64 vcc, exec, s[28:29]
	s_cbranch_vccz .LBB1_110
; %bb.26:
	s_waitcnt vmcnt(0)
	v_and_b32_e32 v32, 2, v0
	v_mov_b32_e32 v28, 0
	v_and_b32_e32 v2, -3, v0
	v_mov_b32_e32 v3, v1
	s_mov_b64 s[10:11], 4
	v_mov_b32_e32 v6, 2
	v_mov_b32_e32 v7, 1
	s_branch .LBB1_28
.LBB1_27:                               ;   in Loop: Header=BB1_28 Depth=1
	s_or_b64 exec, exec, s[16:17]
	s_sub_u32 s10, s10, s12
	s_subb_u32 s11, s11, s13
	s_add_u32 s6, s6, s12
	s_addc_u32 s7, s7, s13
	s_cmp_lg_u64 s[10:11], 0
	s_cbranch_scc0 .LBB1_109
.LBB1_28:                               ; =>This Loop Header: Depth=1
                                        ;     Child Loop BB1_31 Depth 2
                                        ;     Child Loop BB1_38 Depth 2
	;; [unrolled: 1-line block ×11, first 2 shown]
	v_cmp_lt_u64_e64 s[4:5], s[10:11], 56
	v_cmp_gt_u64_e64 s[14:15], s[10:11], 7
	s_and_b64 s[4:5], s[4:5], exec
	s_cselect_b32 s13, s11, 0
	s_cselect_b32 s12, s10, 56
	s_and_b64 vcc, exec, s[14:15]
	s_cbranch_vccnz .LBB1_33
; %bb.29:                               ;   in Loop: Header=BB1_28 Depth=1
	v_mov_b32_e32 v10, 0
	s_cmp_eq_u64 s[10:11], 0
	v_mov_b32_e32 v11, 0
	s_mov_b64 s[4:5], 0
	s_cbranch_scc1 .LBB1_32
; %bb.30:                               ;   in Loop: Header=BB1_28 Depth=1
	v_mov_b32_e32 v10, 0
	s_lshl_b64 s[14:15], s[12:13], 3
	s_mov_b64 s[16:17], 0
	v_mov_b32_e32 v11, 0
	s_mov_b64 s[18:19], s[6:7]
.LBB1_31:                               ;   Parent Loop BB1_28 Depth=1
                                        ; =>  This Inner Loop Header: Depth=2
	global_load_ubyte v4, v28, s[18:19]
	s_waitcnt vmcnt(0)
	v_and_b32_e32 v27, 0xffff, v4
	v_lshlrev_b64 v[4:5], s16, v[27:28]
	s_add_u32 s16, s16, 8
	s_addc_u32 s17, s17, 0
	s_add_u32 s18, s18, 1
	s_addc_u32 s19, s19, 0
	v_or_b32_e32 v10, v4, v10
	s_cmp_lg_u32 s14, s16
	v_or_b32_e32 v11, v5, v11
	s_cbranch_scc1 .LBB1_31
.LBB1_32:                               ;   in Loop: Header=BB1_28 Depth=1
	s_mov_b32 s18, 0
	s_andn2_b64 vcc, exec, s[4:5]
	s_mov_b64 s[4:5], s[6:7]
	s_cbranch_vccz .LBB1_34
	s_branch .LBB1_35
.LBB1_33:                               ;   in Loop: Header=BB1_28 Depth=1
                                        ; implicit-def: $vgpr10_vgpr11
                                        ; implicit-def: $sgpr18
	s_mov_b64 s[4:5], s[6:7]
.LBB1_34:                               ;   in Loop: Header=BB1_28 Depth=1
	global_load_dwordx2 v[10:11], v28, s[6:7]
	s_add_i32 s18, s12, -8
	s_add_u32 s4, s6, 8
	s_addc_u32 s5, s7, 0
.LBB1_35:                               ;   in Loop: Header=BB1_28 Depth=1
	s_cmp_gt_u32 s18, 7
	s_cbranch_scc1 .LBB1_39
; %bb.36:                               ;   in Loop: Header=BB1_28 Depth=1
	s_cmp_eq_u32 s18, 0
	s_cbranch_scc1 .LBB1_40
; %bb.37:                               ;   in Loop: Header=BB1_28 Depth=1
	v_mov_b32_e32 v12, 0
	s_mov_b64 s[14:15], 0
	v_mov_b32_e32 v13, 0
	s_mov_b64 s[16:17], 0
.LBB1_38:                               ;   Parent Loop BB1_28 Depth=1
                                        ; =>  This Inner Loop Header: Depth=2
	s_add_u32 s20, s4, s16
	s_addc_u32 s21, s5, s17
	global_load_ubyte v4, v28, s[20:21]
	s_add_u32 s16, s16, 1
	s_addc_u32 s17, s17, 0
	s_waitcnt vmcnt(0)
	v_and_b32_e32 v27, 0xffff, v4
	v_lshlrev_b64 v[4:5], s14, v[27:28]
	s_add_u32 s14, s14, 8
	s_addc_u32 s15, s15, 0
	v_or_b32_e32 v12, v4, v12
	s_cmp_lg_u32 s18, s16
	v_or_b32_e32 v13, v5, v13
	s_cbranch_scc1 .LBB1_38
	s_branch .LBB1_41
.LBB1_39:                               ;   in Loop: Header=BB1_28 Depth=1
                                        ; implicit-def: $vgpr12_vgpr13
                                        ; implicit-def: $sgpr19
	s_branch .LBB1_42
.LBB1_40:                               ;   in Loop: Header=BB1_28 Depth=1
	v_mov_b32_e32 v12, 0
	v_mov_b32_e32 v13, 0
.LBB1_41:                               ;   in Loop: Header=BB1_28 Depth=1
	s_mov_b32 s19, 0
	s_cbranch_execnz .LBB1_43
.LBB1_42:                               ;   in Loop: Header=BB1_28 Depth=1
	global_load_dwordx2 v[12:13], v28, s[4:5]
	s_add_i32 s19, s18, -8
	s_add_u32 s4, s4, 8
	s_addc_u32 s5, s5, 0
.LBB1_43:                               ;   in Loop: Header=BB1_28 Depth=1
	s_cmp_gt_u32 s19, 7
	s_cbranch_scc1 .LBB1_47
; %bb.44:                               ;   in Loop: Header=BB1_28 Depth=1
	s_cmp_eq_u32 s19, 0
	s_cbranch_scc1 .LBB1_48
; %bb.45:                               ;   in Loop: Header=BB1_28 Depth=1
	v_mov_b32_e32 v14, 0
	s_mov_b64 s[14:15], 0
	v_mov_b32_e32 v15, 0
	s_mov_b64 s[16:17], 0
.LBB1_46:                               ;   Parent Loop BB1_28 Depth=1
                                        ; =>  This Inner Loop Header: Depth=2
	s_add_u32 s20, s4, s16
	s_addc_u32 s21, s5, s17
	global_load_ubyte v4, v28, s[20:21]
	s_add_u32 s16, s16, 1
	s_addc_u32 s17, s17, 0
	s_waitcnt vmcnt(0)
	v_and_b32_e32 v27, 0xffff, v4
	v_lshlrev_b64 v[4:5], s14, v[27:28]
	s_add_u32 s14, s14, 8
	s_addc_u32 s15, s15, 0
	v_or_b32_e32 v14, v4, v14
	s_cmp_lg_u32 s19, s16
	v_or_b32_e32 v15, v5, v15
	s_cbranch_scc1 .LBB1_46
	s_branch .LBB1_49
.LBB1_47:                               ;   in Loop: Header=BB1_28 Depth=1
                                        ; implicit-def: $sgpr18
	s_branch .LBB1_50
.LBB1_48:                               ;   in Loop: Header=BB1_28 Depth=1
	v_mov_b32_e32 v14, 0
	v_mov_b32_e32 v15, 0
.LBB1_49:                               ;   in Loop: Header=BB1_28 Depth=1
	s_mov_b32 s18, 0
	s_cbranch_execnz .LBB1_51
.LBB1_50:                               ;   in Loop: Header=BB1_28 Depth=1
	global_load_dwordx2 v[14:15], v28, s[4:5]
	s_add_i32 s18, s19, -8
	s_add_u32 s4, s4, 8
	s_addc_u32 s5, s5, 0
.LBB1_51:                               ;   in Loop: Header=BB1_28 Depth=1
	s_cmp_gt_u32 s18, 7
	s_cbranch_scc1 .LBB1_55
; %bb.52:                               ;   in Loop: Header=BB1_28 Depth=1
	s_cmp_eq_u32 s18, 0
	s_cbranch_scc1 .LBB1_56
; %bb.53:                               ;   in Loop: Header=BB1_28 Depth=1
	v_mov_b32_e32 v16, 0
	s_mov_b64 s[14:15], 0
	v_mov_b32_e32 v17, 0
	s_mov_b64 s[16:17], 0
.LBB1_54:                               ;   Parent Loop BB1_28 Depth=1
                                        ; =>  This Inner Loop Header: Depth=2
	s_add_u32 s20, s4, s16
	s_addc_u32 s21, s5, s17
	global_load_ubyte v4, v28, s[20:21]
	s_add_u32 s16, s16, 1
	s_addc_u32 s17, s17, 0
	s_waitcnt vmcnt(0)
	v_and_b32_e32 v27, 0xffff, v4
	v_lshlrev_b64 v[4:5], s14, v[27:28]
	s_add_u32 s14, s14, 8
	s_addc_u32 s15, s15, 0
	v_or_b32_e32 v16, v4, v16
	s_cmp_lg_u32 s18, s16
	v_or_b32_e32 v17, v5, v17
	s_cbranch_scc1 .LBB1_54
	s_branch .LBB1_57
.LBB1_55:                               ;   in Loop: Header=BB1_28 Depth=1
                                        ; implicit-def: $vgpr16_vgpr17
                                        ; implicit-def: $sgpr19
	s_branch .LBB1_58
.LBB1_56:                               ;   in Loop: Header=BB1_28 Depth=1
	v_mov_b32_e32 v16, 0
	v_mov_b32_e32 v17, 0
.LBB1_57:                               ;   in Loop: Header=BB1_28 Depth=1
	s_mov_b32 s19, 0
	s_cbranch_execnz .LBB1_59
.LBB1_58:                               ;   in Loop: Header=BB1_28 Depth=1
	global_load_dwordx2 v[16:17], v28, s[4:5]
	s_add_i32 s19, s18, -8
	s_add_u32 s4, s4, 8
	s_addc_u32 s5, s5, 0
.LBB1_59:                               ;   in Loop: Header=BB1_28 Depth=1
	s_cmp_gt_u32 s19, 7
	s_cbranch_scc1 .LBB1_63
; %bb.60:                               ;   in Loop: Header=BB1_28 Depth=1
	s_cmp_eq_u32 s19, 0
	s_cbranch_scc1 .LBB1_64
; %bb.61:                               ;   in Loop: Header=BB1_28 Depth=1
	v_mov_b32_e32 v18, 0
	s_mov_b64 s[14:15], 0
	v_mov_b32_e32 v19, 0
	s_mov_b64 s[16:17], 0
.LBB1_62:                               ;   Parent Loop BB1_28 Depth=1
                                        ; =>  This Inner Loop Header: Depth=2
	s_add_u32 s20, s4, s16
	s_addc_u32 s21, s5, s17
	global_load_ubyte v4, v28, s[20:21]
	s_add_u32 s16, s16, 1
	s_addc_u32 s17, s17, 0
	s_waitcnt vmcnt(0)
	v_and_b32_e32 v27, 0xffff, v4
	v_lshlrev_b64 v[4:5], s14, v[27:28]
	s_add_u32 s14, s14, 8
	s_addc_u32 s15, s15, 0
	v_or_b32_e32 v18, v4, v18
	s_cmp_lg_u32 s19, s16
	v_or_b32_e32 v19, v5, v19
	s_cbranch_scc1 .LBB1_62
	s_branch .LBB1_65
.LBB1_63:                               ;   in Loop: Header=BB1_28 Depth=1
                                        ; implicit-def: $sgpr18
	s_branch .LBB1_66
.LBB1_64:                               ;   in Loop: Header=BB1_28 Depth=1
	v_mov_b32_e32 v18, 0
	v_mov_b32_e32 v19, 0
.LBB1_65:                               ;   in Loop: Header=BB1_28 Depth=1
	s_mov_b32 s18, 0
	s_cbranch_execnz .LBB1_67
.LBB1_66:                               ;   in Loop: Header=BB1_28 Depth=1
	global_load_dwordx2 v[18:19], v28, s[4:5]
	s_add_i32 s18, s19, -8
	s_add_u32 s4, s4, 8
	s_addc_u32 s5, s5, 0
.LBB1_67:                               ;   in Loop: Header=BB1_28 Depth=1
	s_cmp_gt_u32 s18, 7
	s_cbranch_scc1 .LBB1_71
; %bb.68:                               ;   in Loop: Header=BB1_28 Depth=1
	s_cmp_eq_u32 s18, 0
	s_cbranch_scc1 .LBB1_72
; %bb.69:                               ;   in Loop: Header=BB1_28 Depth=1
	v_mov_b32_e32 v20, 0
	s_mov_b64 s[14:15], 0
	v_mov_b32_e32 v21, 0
	s_mov_b64 s[16:17], 0
.LBB1_70:                               ;   Parent Loop BB1_28 Depth=1
                                        ; =>  This Inner Loop Header: Depth=2
	s_add_u32 s20, s4, s16
	s_addc_u32 s21, s5, s17
	global_load_ubyte v4, v28, s[20:21]
	s_add_u32 s16, s16, 1
	s_addc_u32 s17, s17, 0
	s_waitcnt vmcnt(0)
	v_and_b32_e32 v27, 0xffff, v4
	v_lshlrev_b64 v[4:5], s14, v[27:28]
	s_add_u32 s14, s14, 8
	s_addc_u32 s15, s15, 0
	v_or_b32_e32 v20, v4, v20
	s_cmp_lg_u32 s18, s16
	v_or_b32_e32 v21, v5, v21
	s_cbranch_scc1 .LBB1_70
	s_branch .LBB1_73
.LBB1_71:                               ;   in Loop: Header=BB1_28 Depth=1
                                        ; implicit-def: $vgpr20_vgpr21
                                        ; implicit-def: $sgpr19
	s_branch .LBB1_74
.LBB1_72:                               ;   in Loop: Header=BB1_28 Depth=1
	v_mov_b32_e32 v20, 0
	v_mov_b32_e32 v21, 0
.LBB1_73:                               ;   in Loop: Header=BB1_28 Depth=1
	s_mov_b32 s19, 0
	s_cbranch_execnz .LBB1_75
.LBB1_74:                               ;   in Loop: Header=BB1_28 Depth=1
	global_load_dwordx2 v[20:21], v28, s[4:5]
	s_add_i32 s19, s18, -8
	s_add_u32 s4, s4, 8
	s_addc_u32 s5, s5, 0
.LBB1_75:                               ;   in Loop: Header=BB1_28 Depth=1
	s_cmp_gt_u32 s19, 7
	s_cbranch_scc1 .LBB1_79
; %bb.76:                               ;   in Loop: Header=BB1_28 Depth=1
	s_cmp_eq_u32 s19, 0
	s_cbranch_scc1 .LBB1_80
; %bb.77:                               ;   in Loop: Header=BB1_28 Depth=1
	v_mov_b32_e32 v22, 0
	s_mov_b64 s[14:15], 0
	v_mov_b32_e32 v23, 0
	s_mov_b64 s[16:17], s[4:5]
.LBB1_78:                               ;   Parent Loop BB1_28 Depth=1
                                        ; =>  This Inner Loop Header: Depth=2
	global_load_ubyte v4, v28, s[16:17]
	s_add_i32 s19, s19, -1
	s_waitcnt vmcnt(0)
	v_and_b32_e32 v27, 0xffff, v4
	v_lshlrev_b64 v[4:5], s14, v[27:28]
	s_add_u32 s14, s14, 8
	s_addc_u32 s15, s15, 0
	s_add_u32 s16, s16, 1
	s_addc_u32 s17, s17, 0
	v_or_b32_e32 v22, v4, v22
	s_cmp_lg_u32 s19, 0
	v_or_b32_e32 v23, v5, v23
	s_cbranch_scc1 .LBB1_78
	s_branch .LBB1_81
.LBB1_79:                               ;   in Loop: Header=BB1_28 Depth=1
	s_branch .LBB1_82
.LBB1_80:                               ;   in Loop: Header=BB1_28 Depth=1
	v_mov_b32_e32 v22, 0
	v_mov_b32_e32 v23, 0
.LBB1_81:                               ;   in Loop: Header=BB1_28 Depth=1
	s_cbranch_execnz .LBB1_83
.LBB1_82:                               ;   in Loop: Header=BB1_28 Depth=1
	global_load_dwordx2 v[22:23], v28, s[4:5]
.LBB1_83:                               ;   in Loop: Header=BB1_28 Depth=1
	v_readfirstlane_b32 s4, v39
	s_waitcnt vmcnt(0)
	v_mov_b32_e32 v4, 0
	v_mov_b32_e32 v5, 0
	v_cmp_eq_u32_e64 s[4:5], s4, v39
	s_and_saveexec_b64 s[14:15], s[4:5]
	s_cbranch_execz .LBB1_89
; %bb.84:                               ;   in Loop: Header=BB1_28 Depth=1
	global_load_dwordx2 v[26:27], v28, s[26:27] offset:24 glc
	s_waitcnt vmcnt(0)
	buffer_wbinvl1_vol
	global_load_dwordx2 v[4:5], v28, s[26:27] offset:40
	global_load_dwordx2 v[8:9], v28, s[26:27]
	s_waitcnt vmcnt(0)
	v_and_b32_e32 v4, v4, v26
	v_and_b32_e32 v5, v5, v27
	v_mul_lo_u32 v5, v5, 24
	v_mul_hi_u32 v24, v4, 24
	v_mul_lo_u32 v4, v4, 24
	v_add_u32_e32 v5, v24, v5
	v_add_co_u32_e32 v4, vcc, v8, v4
	v_addc_co_u32_e32 v5, vcc, v9, v5, vcc
	global_load_dwordx2 v[24:25], v[4:5], off glc
	s_waitcnt vmcnt(0)
	global_atomic_cmpswap_x2 v[4:5], v28, v[24:27], s[26:27] offset:24 glc
	s_waitcnt vmcnt(0)
	buffer_wbinvl1_vol
	v_cmp_ne_u64_e32 vcc, v[4:5], v[26:27]
	s_and_saveexec_b64 s[16:17], vcc
	s_cbranch_execz .LBB1_88
; %bb.85:                               ;   in Loop: Header=BB1_28 Depth=1
	s_mov_b64 s[18:19], 0
.LBB1_86:                               ;   Parent Loop BB1_28 Depth=1
                                        ; =>  This Inner Loop Header: Depth=2
	s_sleep 1
	global_load_dwordx2 v[8:9], v28, s[26:27] offset:40
	global_load_dwordx2 v[24:25], v28, s[26:27]
	v_mov_b32_e32 v27, v5
	v_mov_b32_e32 v26, v4
	s_waitcnt vmcnt(0)
	v_and_b32_e32 v4, v8, v26
	v_mad_u64_u32 v[4:5], s[20:21], v4, 24, v[24:25]
	v_and_b32_e32 v8, v9, v27
	v_mad_u64_u32 v[8:9], s[20:21], v8, 24, v[5:6]
	v_mov_b32_e32 v5, v8
	global_load_dwordx2 v[24:25], v[4:5], off glc
	s_waitcnt vmcnt(0)
	global_atomic_cmpswap_x2 v[4:5], v28, v[24:27], s[26:27] offset:24 glc
	s_waitcnt vmcnt(0)
	buffer_wbinvl1_vol
	v_cmp_eq_u64_e32 vcc, v[4:5], v[26:27]
	s_or_b64 s[18:19], vcc, s[18:19]
	s_andn2_b64 exec, exec, s[18:19]
	s_cbranch_execnz .LBB1_86
; %bb.87:                               ;   in Loop: Header=BB1_28 Depth=1
	s_or_b64 exec, exec, s[18:19]
.LBB1_88:                               ;   in Loop: Header=BB1_28 Depth=1
	s_or_b64 exec, exec, s[16:17]
.LBB1_89:                               ;   in Loop: Header=BB1_28 Depth=1
	s_or_b64 exec, exec, s[14:15]
	global_load_dwordx2 v[8:9], v28, s[26:27] offset:40
	global_load_dwordx4 v[24:27], v28, s[26:27]
	v_readfirstlane_b32 s14, v4
	v_readfirstlane_b32 s15, v5
	s_mov_b64 s[16:17], exec
	s_waitcnt vmcnt(0)
	v_readfirstlane_b32 s18, v8
	v_readfirstlane_b32 s19, v9
	s_and_b64 s[18:19], s[14:15], s[18:19]
	s_mul_i32 s20, s19, 24
	s_mul_hi_u32 s21, s18, 24
	s_mul_i32 s22, s18, 24
	s_add_i32 s20, s21, s20
	v_mov_b32_e32 v4, s20
	v_add_co_u32_e32 v29, vcc, s22, v24
	v_addc_co_u32_e32 v30, vcc, v25, v4, vcc
	s_and_saveexec_b64 s[20:21], s[4:5]
	s_cbranch_execz .LBB1_91
; %bb.90:                               ;   in Loop: Header=BB1_28 Depth=1
	v_mov_b32_e32 v4, s16
	v_mov_b32_e32 v5, s17
	global_store_dwordx4 v[29:30], v[4:7], off offset:8
.LBB1_91:                               ;   in Loop: Header=BB1_28 Depth=1
	s_or_b64 exec, exec, s[20:21]
	s_lshl_b64 s[16:17], s[18:19], 12
	v_mov_b32_e32 v4, s17
	v_add_co_u32_e32 v26, vcc, s16, v26
	v_addc_co_u32_e32 v33, vcc, v27, v4, vcc
	v_cmp_gt_u64_e64 vcc, s[10:11], 56
	v_or_b32_e32 v5, v2, v32
	s_lshl_b32 s16, s12, 2
	v_cndmask_b32_e32 v2, v5, v2, vcc
	s_add_i32 s16, s16, 28
	v_or_b32_e32 v4, 0, v3
	s_and_b32 s16, s16, 0x1e0
	v_and_b32_e32 v2, 0xffffff1f, v2
	v_cndmask_b32_e32 v9, v4, v3, vcc
	v_or_b32_e32 v8, s16, v2
	v_readfirstlane_b32 s16, v26
	v_readfirstlane_b32 s17, v33
	s_nop 4
	global_store_dwordx4 v38, v[8:11], s[16:17]
	global_store_dwordx4 v38, v[12:15], s[16:17] offset:16
	global_store_dwordx4 v38, v[16:19], s[16:17] offset:32
	;; [unrolled: 1-line block ×3, first 2 shown]
	s_and_saveexec_b64 s[16:17], s[4:5]
	s_cbranch_execz .LBB1_99
; %bb.92:                               ;   in Loop: Header=BB1_28 Depth=1
	global_load_dwordx2 v[12:13], v28, s[26:27] offset:32 glc
	global_load_dwordx2 v[2:3], v28, s[26:27] offset:40
	v_mov_b32_e32 v10, s14
	v_mov_b32_e32 v11, s15
	s_waitcnt vmcnt(0)
	v_readfirstlane_b32 s18, v2
	v_readfirstlane_b32 s19, v3
	s_and_b64 s[18:19], s[18:19], s[14:15]
	s_mul_i32 s19, s19, 24
	s_mul_hi_u32 s20, s18, 24
	s_mul_i32 s18, s18, 24
	s_add_i32 s19, s20, s19
	v_mov_b32_e32 v2, s19
	v_add_co_u32_e32 v8, vcc, s18, v24
	v_addc_co_u32_e32 v9, vcc, v25, v2, vcc
	global_store_dwordx2 v[8:9], v[12:13], off
	s_waitcnt vmcnt(0)
	global_atomic_cmpswap_x2 v[4:5], v28, v[10:13], s[26:27] offset:32 glc
	s_waitcnt vmcnt(0)
	v_cmp_ne_u64_e32 vcc, v[4:5], v[12:13]
	s_and_saveexec_b64 s[18:19], vcc
	s_cbranch_execz .LBB1_95
; %bb.93:                               ;   in Loop: Header=BB1_28 Depth=1
	s_mov_b64 s[20:21], 0
.LBB1_94:                               ;   Parent Loop BB1_28 Depth=1
                                        ; =>  This Inner Loop Header: Depth=2
	s_sleep 1
	global_store_dwordx2 v[8:9], v[4:5], off
	v_mov_b32_e32 v2, s14
	v_mov_b32_e32 v3, s15
	s_waitcnt vmcnt(0)
	global_atomic_cmpswap_x2 v[2:3], v28, v[2:5], s[26:27] offset:32 glc
	s_waitcnt vmcnt(0)
	v_cmp_eq_u64_e32 vcc, v[2:3], v[4:5]
	v_mov_b32_e32 v5, v3
	s_or_b64 s[20:21], vcc, s[20:21]
	v_mov_b32_e32 v4, v2
	s_andn2_b64 exec, exec, s[20:21]
	s_cbranch_execnz .LBB1_94
.LBB1_95:                               ;   in Loop: Header=BB1_28 Depth=1
	s_or_b64 exec, exec, s[18:19]
	global_load_dwordx2 v[2:3], v28, s[26:27] offset:16
	s_mov_b64 s[20:21], exec
	v_mbcnt_lo_u32_b32 v4, s20, 0
	v_mbcnt_hi_u32_b32 v4, s21, v4
	v_cmp_eq_u32_e32 vcc, 0, v4
	s_and_saveexec_b64 s[18:19], vcc
	s_cbranch_execz .LBB1_97
; %bb.96:                               ;   in Loop: Header=BB1_28 Depth=1
	s_bcnt1_i32_b64 s20, s[20:21]
	v_mov_b32_e32 v27, s20
	s_waitcnt vmcnt(0)
	global_atomic_add_x2 v[2:3], v[27:28], off offset:8
.LBB1_97:                               ;   in Loop: Header=BB1_28 Depth=1
	s_or_b64 exec, exec, s[18:19]
	s_waitcnt vmcnt(0)
	global_load_dwordx2 v[4:5], v[2:3], off offset:16
	s_waitcnt vmcnt(0)
	v_cmp_eq_u64_e32 vcc, 0, v[4:5]
	s_cbranch_vccnz .LBB1_99
; %bb.98:                               ;   in Loop: Header=BB1_28 Depth=1
	global_load_dword v27, v[2:3], off offset:24
	s_waitcnt vmcnt(0)
	v_and_b32_e32 v2, 0xffffff, v27
	v_readfirstlane_b32 m0, v2
	global_store_dwordx2 v[4:5], v[27:28], off
	s_sendmsg sendmsg(MSG_INTERRUPT)
.LBB1_99:                               ;   in Loop: Header=BB1_28 Depth=1
	s_or_b64 exec, exec, s[16:17]
	v_add_co_u32_e32 v2, vcc, v26, v38
	v_addc_co_u32_e32 v3, vcc, 0, v33, vcc
	s_branch .LBB1_103
.LBB1_100:                              ;   in Loop: Header=BB1_103 Depth=2
	s_or_b64 exec, exec, s[16:17]
	v_readfirstlane_b32 s16, v4
	s_cmp_eq_u32 s16, 0
	s_cbranch_scc1 .LBB1_102
; %bb.101:                              ;   in Loop: Header=BB1_103 Depth=2
	s_sleep 1
	s_cbranch_execnz .LBB1_103
	s_branch .LBB1_105
.LBB1_102:                              ;   in Loop: Header=BB1_28 Depth=1
	s_branch .LBB1_105
.LBB1_103:                              ;   Parent Loop BB1_28 Depth=1
                                        ; =>  This Inner Loop Header: Depth=2
	v_mov_b32_e32 v4, 1
	s_and_saveexec_b64 s[16:17], s[4:5]
	s_cbranch_execz .LBB1_100
; %bb.104:                              ;   in Loop: Header=BB1_103 Depth=2
	global_load_dword v4, v[29:30], off offset:20 glc
	s_waitcnt vmcnt(0)
	buffer_wbinvl1_vol
	v_and_b32_e32 v4, 1, v4
	s_branch .LBB1_100
.LBB1_105:                              ;   in Loop: Header=BB1_28 Depth=1
	global_load_dwordx4 v[2:5], v[2:3], off
	s_and_saveexec_b64 s[16:17], s[4:5]
	s_cbranch_execz .LBB1_27
; %bb.106:                              ;   in Loop: Header=BB1_28 Depth=1
	global_load_dwordx2 v[4:5], v28, s[26:27] offset:40
	global_load_dwordx2 v[12:13], v28, s[26:27] offset:24 glc
	global_load_dwordx2 v[14:15], v28, s[26:27]
	v_mov_b32_e32 v9, s15
	s_waitcnt vmcnt(0)
	v_add_co_u32_e32 v10, vcc, 1, v4
	v_addc_co_u32_e32 v11, vcc, 0, v5, vcc
	v_add_co_u32_e32 v8, vcc, s14, v10
	v_addc_co_u32_e32 v9, vcc, v11, v9, vcc
	v_cmp_eq_u64_e32 vcc, 0, v[8:9]
	v_cndmask_b32_e32 v9, v9, v11, vcc
	v_cndmask_b32_e32 v8, v8, v10, vcc
	v_and_b32_e32 v5, v9, v5
	v_and_b32_e32 v4, v8, v4
	v_mul_lo_u32 v5, v5, 24
	v_mul_hi_u32 v11, v4, 24
	v_mul_lo_u32 v4, v4, 24
	v_mov_b32_e32 v10, v12
	v_add_u32_e32 v5, v11, v5
	v_add_co_u32_e32 v4, vcc, v14, v4
	v_addc_co_u32_e32 v5, vcc, v15, v5, vcc
	global_store_dwordx2 v[4:5], v[12:13], off
	v_mov_b32_e32 v11, v13
	s_waitcnt vmcnt(0)
	global_atomic_cmpswap_x2 v[10:11], v28, v[8:11], s[26:27] offset:24 glc
	s_waitcnt vmcnt(0)
	v_cmp_ne_u64_e32 vcc, v[10:11], v[12:13]
	s_and_b64 exec, exec, vcc
	s_cbranch_execz .LBB1_27
; %bb.107:                              ;   in Loop: Header=BB1_28 Depth=1
	s_mov_b64 s[4:5], 0
.LBB1_108:                              ;   Parent Loop BB1_28 Depth=1
                                        ; =>  This Inner Loop Header: Depth=2
	s_sleep 1
	global_store_dwordx2 v[4:5], v[10:11], off
	s_waitcnt vmcnt(0)
	global_atomic_cmpswap_x2 v[12:13], v28, v[8:11], s[26:27] offset:24 glc
	s_waitcnt vmcnt(0)
	v_cmp_eq_u64_e32 vcc, v[12:13], v[10:11]
	v_mov_b32_e32 v10, v12
	s_or_b64 s[4:5], vcc, s[4:5]
	v_mov_b32_e32 v11, v13
	s_andn2_b64 exec, exec, s[4:5]
	s_cbranch_execnz .LBB1_108
	s_branch .LBB1_27
.LBB1_109:
	s_branch .LBB1_137
.LBB1_110:
                                        ; implicit-def: $vgpr2_vgpr3
	s_cbranch_execz .LBB1_137
; %bb.111:
	v_readfirstlane_b32 s4, v39
	v_mov_b32_e32 v8, 0
	v_mov_b32_e32 v9, 0
	v_cmp_eq_u32_e64 s[4:5], s4, v39
	s_and_saveexec_b64 s[6:7], s[4:5]
	s_cbranch_execz .LBB1_117
; %bb.112:
	s_waitcnt vmcnt(0)
	v_mov_b32_e32 v2, 0
	global_load_dwordx2 v[5:6], v2, s[26:27] offset:24 glc
	s_waitcnt vmcnt(0)
	buffer_wbinvl1_vol
	global_load_dwordx2 v[3:4], v2, s[26:27] offset:40
	global_load_dwordx2 v[7:8], v2, s[26:27]
	s_waitcnt vmcnt(0)
	v_and_b32_e32 v3, v3, v5
	v_and_b32_e32 v4, v4, v6
	v_mul_lo_u32 v4, v4, 24
	v_mul_hi_u32 v9, v3, 24
	v_mul_lo_u32 v3, v3, 24
	v_add_u32_e32 v4, v9, v4
	v_add_co_u32_e32 v3, vcc, v7, v3
	v_addc_co_u32_e32 v4, vcc, v8, v4, vcc
	global_load_dwordx2 v[3:4], v[3:4], off glc
	s_waitcnt vmcnt(0)
	global_atomic_cmpswap_x2 v[8:9], v2, v[3:6], s[26:27] offset:24 glc
	s_waitcnt vmcnt(0)
	buffer_wbinvl1_vol
	v_cmp_ne_u64_e32 vcc, v[8:9], v[5:6]
	s_and_saveexec_b64 s[10:11], vcc
	s_cbranch_execz .LBB1_116
; %bb.113:
	s_mov_b64 s[12:13], 0
.LBB1_114:                              ; =>This Inner Loop Header: Depth=1
	s_sleep 1
	global_load_dwordx2 v[3:4], v2, s[26:27] offset:40
	global_load_dwordx2 v[10:11], v2, s[26:27]
	v_mov_b32_e32 v5, v8
	v_mov_b32_e32 v6, v9
	s_waitcnt vmcnt(0)
	v_and_b32_e32 v3, v3, v5
	v_mad_u64_u32 v[7:8], s[14:15], v3, 24, v[10:11]
	v_and_b32_e32 v4, v4, v6
	v_mov_b32_e32 v3, v8
	v_mad_u64_u32 v[3:4], s[14:15], v4, 24, v[3:4]
	v_mov_b32_e32 v8, v3
	global_load_dwordx2 v[3:4], v[7:8], off glc
	s_waitcnt vmcnt(0)
	global_atomic_cmpswap_x2 v[8:9], v2, v[3:6], s[26:27] offset:24 glc
	s_waitcnt vmcnt(0)
	buffer_wbinvl1_vol
	v_cmp_eq_u64_e32 vcc, v[8:9], v[5:6]
	s_or_b64 s[12:13], vcc, s[12:13]
	s_andn2_b64 exec, exec, s[12:13]
	s_cbranch_execnz .LBB1_114
; %bb.115:
	s_or_b64 exec, exec, s[12:13]
.LBB1_116:
	s_or_b64 exec, exec, s[10:11]
.LBB1_117:
	s_or_b64 exec, exec, s[6:7]
	s_waitcnt vmcnt(0)
	v_mov_b32_e32 v2, 0
	global_load_dwordx2 v[10:11], v2, s[26:27] offset:40
	global_load_dwordx4 v[4:7], v2, s[26:27]
	v_readfirstlane_b32 s6, v8
	v_readfirstlane_b32 s7, v9
	s_mov_b64 s[10:11], exec
	s_waitcnt vmcnt(0)
	v_readfirstlane_b32 s12, v10
	v_readfirstlane_b32 s13, v11
	s_and_b64 s[12:13], s[6:7], s[12:13]
	s_mul_i32 s14, s13, 24
	s_mul_hi_u32 s15, s12, 24
	s_mul_i32 s16, s12, 24
	s_add_i32 s14, s15, s14
	v_mov_b32_e32 v3, s14
	v_add_co_u32_e32 v8, vcc, s16, v4
	v_addc_co_u32_e32 v9, vcc, v5, v3, vcc
	s_and_saveexec_b64 s[14:15], s[4:5]
	s_cbranch_execz .LBB1_119
; %bb.118:
	v_mov_b32_e32 v10, s10
	v_mov_b32_e32 v11, s11
	;; [unrolled: 1-line block ×4, first 2 shown]
	global_store_dwordx4 v[8:9], v[10:13], off offset:8
.LBB1_119:
	s_or_b64 exec, exec, s[14:15]
	s_lshl_b64 s[10:11], s[12:13], 12
	v_mov_b32_e32 v3, s11
	v_add_co_u32_e32 v10, vcc, s10, v6
	v_addc_co_u32_e32 v11, vcc, v7, v3, vcc
	s_movk_i32 s10, 0xff1f
	v_and_or_b32 v0, v0, s10, 32
	s_mov_b32 s12, 0
	v_mov_b32_e32 v3, v2
	v_readfirstlane_b32 s10, v10
	v_readfirstlane_b32 s11, v11
	v_add_co_u32_e32 v6, vcc, v10, v38
	s_mov_b32 s13, s12
	s_mov_b32 s14, s12
	;; [unrolled: 1-line block ×3, first 2 shown]
	s_nop 0
	global_store_dwordx4 v38, v[0:3], s[10:11]
	v_addc_co_u32_e32 v7, vcc, 0, v11, vcc
	v_mov_b32_e32 v0, s12
	v_mov_b32_e32 v1, s13
	;; [unrolled: 1-line block ×4, first 2 shown]
	global_store_dwordx4 v38, v[0:3], s[10:11] offset:16
	global_store_dwordx4 v38, v[0:3], s[10:11] offset:32
	;; [unrolled: 1-line block ×3, first 2 shown]
	s_and_saveexec_b64 s[10:11], s[4:5]
	s_cbranch_execz .LBB1_127
; %bb.120:
	v_mov_b32_e32 v10, 0
	global_load_dwordx2 v[13:14], v10, s[26:27] offset:32 glc
	global_load_dwordx2 v[0:1], v10, s[26:27] offset:40
	v_mov_b32_e32 v11, s6
	v_mov_b32_e32 v12, s7
	s_waitcnt vmcnt(0)
	v_readfirstlane_b32 s12, v0
	v_readfirstlane_b32 s13, v1
	s_and_b64 s[12:13], s[12:13], s[6:7]
	s_mul_i32 s13, s13, 24
	s_mul_hi_u32 s14, s12, 24
	s_mul_i32 s12, s12, 24
	s_add_i32 s13, s14, s13
	v_mov_b32_e32 v0, s13
	v_add_co_u32_e32 v4, vcc, s12, v4
	v_addc_co_u32_e32 v5, vcc, v5, v0, vcc
	global_store_dwordx2 v[4:5], v[13:14], off
	s_waitcnt vmcnt(0)
	global_atomic_cmpswap_x2 v[2:3], v10, v[11:14], s[26:27] offset:32 glc
	s_waitcnt vmcnt(0)
	v_cmp_ne_u64_e32 vcc, v[2:3], v[13:14]
	s_and_saveexec_b64 s[12:13], vcc
	s_cbranch_execz .LBB1_123
; %bb.121:
	s_mov_b64 s[14:15], 0
.LBB1_122:                              ; =>This Inner Loop Header: Depth=1
	s_sleep 1
	global_store_dwordx2 v[4:5], v[2:3], off
	v_mov_b32_e32 v0, s6
	v_mov_b32_e32 v1, s7
	s_waitcnt vmcnt(0)
	global_atomic_cmpswap_x2 v[0:1], v10, v[0:3], s[26:27] offset:32 glc
	s_waitcnt vmcnt(0)
	v_cmp_eq_u64_e32 vcc, v[0:1], v[2:3]
	v_mov_b32_e32 v3, v1
	s_or_b64 s[14:15], vcc, s[14:15]
	v_mov_b32_e32 v2, v0
	s_andn2_b64 exec, exec, s[14:15]
	s_cbranch_execnz .LBB1_122
.LBB1_123:
	s_or_b64 exec, exec, s[12:13]
	v_mov_b32_e32 v3, 0
	global_load_dwordx2 v[0:1], v3, s[26:27] offset:16
	s_mov_b64 s[12:13], exec
	v_mbcnt_lo_u32_b32 v2, s12, 0
	v_mbcnt_hi_u32_b32 v2, s13, v2
	v_cmp_eq_u32_e32 vcc, 0, v2
	s_and_saveexec_b64 s[14:15], vcc
	s_cbranch_execz .LBB1_125
; %bb.124:
	s_bcnt1_i32_b64 s12, s[12:13]
	v_mov_b32_e32 v2, s12
	s_waitcnt vmcnt(0)
	global_atomic_add_x2 v[0:1], v[2:3], off offset:8
.LBB1_125:
	s_or_b64 exec, exec, s[14:15]
	s_waitcnt vmcnt(0)
	global_load_dwordx2 v[2:3], v[0:1], off offset:16
	s_waitcnt vmcnt(0)
	v_cmp_eq_u64_e32 vcc, 0, v[2:3]
	s_cbranch_vccnz .LBB1_127
; %bb.126:
	global_load_dword v0, v[0:1], off offset:24
	v_mov_b32_e32 v1, 0
	s_waitcnt vmcnt(0)
	global_store_dwordx2 v[2:3], v[0:1], off
	v_and_b32_e32 v0, 0xffffff, v0
	v_readfirstlane_b32 m0, v0
	s_sendmsg sendmsg(MSG_INTERRUPT)
.LBB1_127:
	s_or_b64 exec, exec, s[10:11]
	s_branch .LBB1_131
.LBB1_128:                              ;   in Loop: Header=BB1_131 Depth=1
	s_or_b64 exec, exec, s[10:11]
	v_readfirstlane_b32 s10, v0
	s_cmp_eq_u32 s10, 0
	s_cbranch_scc1 .LBB1_130
; %bb.129:                              ;   in Loop: Header=BB1_131 Depth=1
	s_sleep 1
	s_cbranch_execnz .LBB1_131
	s_branch .LBB1_133
.LBB1_130:
	s_branch .LBB1_133
.LBB1_131:                              ; =>This Inner Loop Header: Depth=1
	v_mov_b32_e32 v0, 1
	s_and_saveexec_b64 s[10:11], s[4:5]
	s_cbranch_execz .LBB1_128
; %bb.132:                              ;   in Loop: Header=BB1_131 Depth=1
	global_load_dword v0, v[8:9], off offset:20 glc
	s_waitcnt vmcnt(0)
	buffer_wbinvl1_vol
	v_and_b32_e32 v0, 1, v0
	s_branch .LBB1_128
.LBB1_133:
	global_load_dwordx2 v[2:3], v[6:7], off
	s_and_saveexec_b64 s[10:11], s[4:5]
	s_cbranch_execz .LBB1_136
; %bb.134:
	v_mov_b32_e32 v8, 0
	global_load_dwordx2 v[0:1], v8, s[26:27] offset:40
	global_load_dwordx2 v[9:10], v8, s[26:27] offset:24 glc
	global_load_dwordx2 v[11:12], v8, s[26:27]
	v_mov_b32_e32 v5, s7
	s_mov_b64 s[4:5], 0
	s_waitcnt vmcnt(0)
	v_add_co_u32_e32 v6, vcc, 1, v0
	v_addc_co_u32_e32 v7, vcc, 0, v1, vcc
	v_add_co_u32_e32 v4, vcc, s6, v6
	v_addc_co_u32_e32 v5, vcc, v7, v5, vcc
	v_cmp_eq_u64_e32 vcc, 0, v[4:5]
	v_cndmask_b32_e32 v5, v5, v7, vcc
	v_cndmask_b32_e32 v4, v4, v6, vcc
	v_and_b32_e32 v1, v5, v1
	v_and_b32_e32 v0, v4, v0
	v_mul_lo_u32 v1, v1, 24
	v_mul_hi_u32 v7, v0, 24
	v_mul_lo_u32 v0, v0, 24
	v_mov_b32_e32 v6, v9
	v_add_u32_e32 v1, v7, v1
	v_add_co_u32_e32 v0, vcc, v11, v0
	v_addc_co_u32_e32 v1, vcc, v12, v1, vcc
	global_store_dwordx2 v[0:1], v[9:10], off
	v_mov_b32_e32 v7, v10
	s_waitcnt vmcnt(0)
	global_atomic_cmpswap_x2 v[6:7], v8, v[4:7], s[26:27] offset:24 glc
	s_waitcnt vmcnt(0)
	v_cmp_ne_u64_e32 vcc, v[6:7], v[9:10]
	s_and_b64 exec, exec, vcc
	s_cbranch_execz .LBB1_136
.LBB1_135:                              ; =>This Inner Loop Header: Depth=1
	s_sleep 1
	global_store_dwordx2 v[0:1], v[6:7], off
	s_waitcnt vmcnt(0)
	global_atomic_cmpswap_x2 v[9:10], v8, v[4:7], s[26:27] offset:24 glc
	s_waitcnt vmcnt(0)
	v_cmp_eq_u64_e32 vcc, v[9:10], v[6:7]
	v_mov_b32_e32 v6, v9
	s_or_b64 s[4:5], vcc, s[4:5]
	v_mov_b32_e32 v7, v10
	s_andn2_b64 exec, exec, s[4:5]
	s_cbranch_execnz .LBB1_135
.LBB1_136:
	s_or_b64 exec, exec, s[10:11]
.LBB1_137:
	v_readfirstlane_b32 s4, v39
	s_waitcnt vmcnt(0)
	v_mov_b32_e32 v0, 0
	v_mov_b32_e32 v1, 0
	v_cmp_eq_u32_e64 s[4:5], s4, v39
	s_and_saveexec_b64 s[6:7], s[4:5]
	s_cbranch_execz .LBB1_143
; %bb.138:
	v_mov_b32_e32 v4, 0
	global_load_dwordx2 v[7:8], v4, s[26:27] offset:24 glc
	s_waitcnt vmcnt(0)
	buffer_wbinvl1_vol
	global_load_dwordx2 v[0:1], v4, s[26:27] offset:40
	global_load_dwordx2 v[5:6], v4, s[26:27]
	s_waitcnt vmcnt(0)
	v_and_b32_e32 v0, v0, v7
	v_and_b32_e32 v1, v1, v8
	v_mul_lo_u32 v1, v1, 24
	v_mul_hi_u32 v9, v0, 24
	v_mul_lo_u32 v0, v0, 24
	v_add_u32_e32 v1, v9, v1
	v_add_co_u32_e32 v0, vcc, v5, v0
	v_addc_co_u32_e32 v1, vcc, v6, v1, vcc
	global_load_dwordx2 v[5:6], v[0:1], off glc
	s_waitcnt vmcnt(0)
	global_atomic_cmpswap_x2 v[0:1], v4, v[5:8], s[26:27] offset:24 glc
	s_waitcnt vmcnt(0)
	buffer_wbinvl1_vol
	v_cmp_ne_u64_e32 vcc, v[0:1], v[7:8]
	s_and_saveexec_b64 s[10:11], vcc
	s_cbranch_execz .LBB1_142
; %bb.139:
	s_mov_b64 s[12:13], 0
.LBB1_140:                              ; =>This Inner Loop Header: Depth=1
	s_sleep 1
	global_load_dwordx2 v[5:6], v4, s[26:27] offset:40
	global_load_dwordx2 v[9:10], v4, s[26:27]
	v_mov_b32_e32 v8, v1
	v_mov_b32_e32 v7, v0
	s_waitcnt vmcnt(0)
	v_and_b32_e32 v0, v5, v7
	v_mad_u64_u32 v[0:1], s[14:15], v0, 24, v[9:10]
	v_and_b32_e32 v5, v6, v8
	v_mad_u64_u32 v[5:6], s[14:15], v5, 24, v[1:2]
	v_mov_b32_e32 v1, v5
	global_load_dwordx2 v[5:6], v[0:1], off glc
	s_waitcnt vmcnt(0)
	global_atomic_cmpswap_x2 v[0:1], v4, v[5:8], s[26:27] offset:24 glc
	s_waitcnt vmcnt(0)
	buffer_wbinvl1_vol
	v_cmp_eq_u64_e32 vcc, v[0:1], v[7:8]
	s_or_b64 s[12:13], vcc, s[12:13]
	s_andn2_b64 exec, exec, s[12:13]
	s_cbranch_execnz .LBB1_140
; %bb.141:
	s_or_b64 exec, exec, s[12:13]
.LBB1_142:
	s_or_b64 exec, exec, s[10:11]
.LBB1_143:
	s_or_b64 exec, exec, s[6:7]
	v_mov_b32_e32 v10, 0
	global_load_dwordx2 v[4:5], v10, s[26:27] offset:40
	global_load_dwordx4 v[6:9], v10, s[26:27]
	v_readfirstlane_b32 s6, v0
	v_readfirstlane_b32 s7, v1
	s_mov_b64 s[10:11], exec
	s_waitcnt vmcnt(0)
	v_readfirstlane_b32 s12, v4
	v_readfirstlane_b32 s13, v5
	s_and_b64 s[12:13], s[6:7], s[12:13]
	s_mul_i32 s14, s13, 24
	s_mul_hi_u32 s15, s12, 24
	s_mul_i32 s16, s12, 24
	s_add_i32 s14, s15, s14
	v_mov_b32_e32 v0, s14
	v_add_co_u32_e32 v10, vcc, s16, v6
	v_addc_co_u32_e32 v11, vcc, v7, v0, vcc
	s_and_saveexec_b64 s[14:15], s[4:5]
	s_cbranch_execz .LBB1_145
; %bb.144:
	v_mov_b32_e32 v13, s11
	v_mov_b32_e32 v12, s10
	;; [unrolled: 1-line block ×4, first 2 shown]
	global_store_dwordx4 v[10:11], v[12:15], off offset:8
.LBB1_145:
	s_or_b64 exec, exec, s[14:15]
	s_lshl_b64 s[10:11], s[12:13], 12
	v_mov_b32_e32 v0, s11
	v_add_co_u32_e32 v1, vcc, s10, v8
	v_addc_co_u32_e32 v0, vcc, v9, v0, vcc
	s_movk_i32 s10, 0xff1d
	v_and_or_b32 v2, v2, s10, 34
	s_waitcnt lgkmcnt(0)
	v_ashrrev_i32_e32 v5, 31, v31
	v_mov_b32_e32 v4, v31
	v_readfirstlane_b32 s10, v1
	v_readfirstlane_b32 s11, v0
	s_mov_b32 s12, 0
	s_mov_b32 s13, s12
	;; [unrolled: 1-line block ×4, first 2 shown]
	s_nop 0
	global_store_dwordx4 v38, v[2:5], s[10:11]
	v_mov_b32_e32 v0, s12
	v_mov_b32_e32 v1, s13
	;; [unrolled: 1-line block ×4, first 2 shown]
	global_store_dwordx4 v38, v[0:3], s[10:11] offset:16
	global_store_dwordx4 v38, v[0:3], s[10:11] offset:32
	;; [unrolled: 1-line block ×3, first 2 shown]
	s_and_saveexec_b64 s[10:11], s[4:5]
	s_cbranch_execz .LBB1_153
; %bb.146:
	v_mov_b32_e32 v8, 0
	global_load_dwordx2 v[14:15], v8, s[26:27] offset:32 glc
	global_load_dwordx2 v[0:1], v8, s[26:27] offset:40
	v_mov_b32_e32 v12, s6
	v_mov_b32_e32 v13, s7
	s_waitcnt vmcnt(0)
	v_readfirstlane_b32 s12, v0
	v_readfirstlane_b32 s13, v1
	s_and_b64 s[12:13], s[12:13], s[6:7]
	s_mul_i32 s13, s13, 24
	s_mul_hi_u32 s14, s12, 24
	s_mul_i32 s12, s12, 24
	s_add_i32 s13, s14, s13
	v_mov_b32_e32 v0, s13
	v_add_co_u32_e32 v4, vcc, s12, v6
	v_addc_co_u32_e32 v5, vcc, v7, v0, vcc
	global_store_dwordx2 v[4:5], v[14:15], off
	s_waitcnt vmcnt(0)
	global_atomic_cmpswap_x2 v[2:3], v8, v[12:15], s[26:27] offset:32 glc
	s_waitcnt vmcnt(0)
	v_cmp_ne_u64_e32 vcc, v[2:3], v[14:15]
	s_and_saveexec_b64 s[12:13], vcc
	s_cbranch_execz .LBB1_149
; %bb.147:
	s_mov_b64 s[14:15], 0
.LBB1_148:                              ; =>This Inner Loop Header: Depth=1
	s_sleep 1
	global_store_dwordx2 v[4:5], v[2:3], off
	v_mov_b32_e32 v0, s6
	v_mov_b32_e32 v1, s7
	s_waitcnt vmcnt(0)
	global_atomic_cmpswap_x2 v[0:1], v8, v[0:3], s[26:27] offset:32 glc
	s_waitcnt vmcnt(0)
	v_cmp_eq_u64_e32 vcc, v[0:1], v[2:3]
	v_mov_b32_e32 v3, v1
	s_or_b64 s[14:15], vcc, s[14:15]
	v_mov_b32_e32 v2, v0
	s_andn2_b64 exec, exec, s[14:15]
	s_cbranch_execnz .LBB1_148
.LBB1_149:
	s_or_b64 exec, exec, s[12:13]
	v_mov_b32_e32 v3, 0
	global_load_dwordx2 v[0:1], v3, s[26:27] offset:16
	s_mov_b64 s[12:13], exec
	v_mbcnt_lo_u32_b32 v2, s12, 0
	v_mbcnt_hi_u32_b32 v2, s13, v2
	v_cmp_eq_u32_e32 vcc, 0, v2
	s_and_saveexec_b64 s[14:15], vcc
	s_cbranch_execz .LBB1_151
; %bb.150:
	s_bcnt1_i32_b64 s12, s[12:13]
	v_mov_b32_e32 v2, s12
	s_waitcnt vmcnt(0)
	global_atomic_add_x2 v[0:1], v[2:3], off offset:8
.LBB1_151:
	s_or_b64 exec, exec, s[14:15]
	s_waitcnt vmcnt(0)
	global_load_dwordx2 v[2:3], v[0:1], off offset:16
	s_waitcnt vmcnt(0)
	v_cmp_eq_u64_e32 vcc, 0, v[2:3]
	s_cbranch_vccnz .LBB1_153
; %bb.152:
	global_load_dword v0, v[0:1], off offset:24
	v_mov_b32_e32 v1, 0
	s_waitcnt vmcnt(0)
	global_store_dwordx2 v[2:3], v[0:1], off
	v_and_b32_e32 v0, 0xffffff, v0
	v_readfirstlane_b32 m0, v0
	s_sendmsg sendmsg(MSG_INTERRUPT)
.LBB1_153:
	s_or_b64 exec, exec, s[10:11]
	s_branch .LBB1_157
.LBB1_154:                              ;   in Loop: Header=BB1_157 Depth=1
	s_or_b64 exec, exec, s[10:11]
	v_readfirstlane_b32 s10, v0
	s_cmp_eq_u32 s10, 0
	s_cbranch_scc1 .LBB1_156
; %bb.155:                              ;   in Loop: Header=BB1_157 Depth=1
	s_sleep 1
	s_cbranch_execnz .LBB1_157
	s_branch .LBB1_159
.LBB1_156:
	s_branch .LBB1_159
.LBB1_157:                              ; =>This Inner Loop Header: Depth=1
	v_mov_b32_e32 v0, 1
	s_and_saveexec_b64 s[10:11], s[4:5]
	s_cbranch_execz .LBB1_154
; %bb.158:                              ;   in Loop: Header=BB1_157 Depth=1
	global_load_dword v0, v[10:11], off offset:20 glc
	s_waitcnt vmcnt(0)
	buffer_wbinvl1_vol
	v_and_b32_e32 v0, 1, v0
	s_branch .LBB1_154
.LBB1_159:
	s_and_saveexec_b64 s[10:11], s[4:5]
	s_cbranch_execz .LBB1_162
; %bb.160:
	v_mov_b32_e32 v6, 0
	global_load_dwordx2 v[2:3], v6, s[26:27] offset:40
	global_load_dwordx2 v[7:8], v6, s[26:27] offset:24 glc
	global_load_dwordx2 v[4:5], v6, s[26:27]
	v_mov_b32_e32 v1, s7
	s_mov_b64 s[4:5], 0
	s_waitcnt vmcnt(2)
	v_add_co_u32_e32 v9, vcc, 1, v2
	v_addc_co_u32_e32 v10, vcc, 0, v3, vcc
	v_add_co_u32_e32 v0, vcc, s6, v9
	v_addc_co_u32_e32 v1, vcc, v10, v1, vcc
	v_cmp_eq_u64_e32 vcc, 0, v[0:1]
	v_cndmask_b32_e32 v1, v1, v10, vcc
	v_cndmask_b32_e32 v0, v0, v9, vcc
	v_and_b32_e32 v3, v1, v3
	v_and_b32_e32 v2, v0, v2
	v_mul_lo_u32 v3, v3, 24
	v_mul_hi_u32 v9, v2, 24
	v_mul_lo_u32 v10, v2, 24
	s_waitcnt vmcnt(1)
	v_mov_b32_e32 v2, v7
	v_add_u32_e32 v3, v9, v3
	s_waitcnt vmcnt(0)
	v_add_co_u32_e32 v4, vcc, v4, v10
	v_addc_co_u32_e32 v5, vcc, v5, v3, vcc
	global_store_dwordx2 v[4:5], v[7:8], off
	v_mov_b32_e32 v3, v8
	s_waitcnt vmcnt(0)
	global_atomic_cmpswap_x2 v[2:3], v6, v[0:3], s[26:27] offset:24 glc
	s_waitcnt vmcnt(0)
	v_cmp_ne_u64_e32 vcc, v[2:3], v[7:8]
	s_and_b64 exec, exec, vcc
	s_cbranch_execz .LBB1_162
.LBB1_161:                              ; =>This Inner Loop Header: Depth=1
	s_sleep 1
	global_store_dwordx2 v[4:5], v[2:3], off
	s_waitcnt vmcnt(0)
	global_atomic_cmpswap_x2 v[7:8], v6, v[0:3], s[26:27] offset:24 glc
	s_waitcnt vmcnt(0)
	v_cmp_eq_u64_e32 vcc, v[7:8], v[2:3]
	v_mov_b32_e32 v2, v7
	s_or_b64 s[4:5], vcc, s[4:5]
	v_mov_b32_e32 v3, v8
	s_andn2_b64 exec, exec, s[4:5]
	s_cbranch_execnz .LBB1_161
.LBB1_162:
	s_or_b64 exec, exec, s[10:11]
	s_getpc_b64 s[34:35]
	s_add_u32 s34, s34, .str.8@rel32@lo+4
	s_addc_u32 s35, s35, .str.8@rel32@hi+12
	s_mov_b64 s[8:9], s[24:25]
	v_mov_b32_e32 v0, s34
	v_mov_b32_e32 v1, s35
	s_getpc_b64 s[36:37]
	s_add_u32 s36, s36, _ZNK8migraphx13basic_printerIZNS_4coutEvEUlT_E_ElsEPKc@rel32@lo+4
	s_addc_u32 s37, s37, _ZNK8migraphx13basic_printerIZNS_4coutEvEUlT_E_ElsEPKc@rel32@hi+12
	s_swappc_b64 s[30:31], s[36:37]
	s_getpc_b64 s[4:5]
	s_add_u32 s4, s4, .str.10@rel32@lo+4
	s_addc_u32 s5, s5, .str.10@rel32@hi+12
	s_mov_b64 s[8:9], s[24:25]
	v_mov_b32_e32 v0, s4
	v_mov_b32_e32 v1, s5
	s_swappc_b64 s[30:31], s[36:37]
	s_mov_b64 s[8:9], s[24:25]
	v_mov_b32_e32 v0, s34
	v_mov_b32_e32 v1, s35
	s_swappc_b64 s[30:31], s[36:37]
	flat_load_dword v31, v[36:37] offset:8
	v_readfirstlane_b32 s4, v39
	v_mov_b32_e32 v5, 0
	v_mov_b32_e32 v6, 0
	v_cmp_eq_u32_e64 s[4:5], s4, v39
	s_and_saveexec_b64 s[6:7], s[4:5]
	s_cbranch_execz .LBB1_168
; %bb.163:
	v_mov_b32_e32 v0, 0
	global_load_dwordx2 v[3:4], v0, s[26:27] offset:24 glc
	s_waitcnt vmcnt(0)
	buffer_wbinvl1_vol
	global_load_dwordx2 v[1:2], v0, s[26:27] offset:40
	global_load_dwordx2 v[5:6], v0, s[26:27]
	s_waitcnt vmcnt(0)
	v_and_b32_e32 v1, v1, v3
	v_and_b32_e32 v2, v2, v4
	v_mul_lo_u32 v2, v2, 24
	v_mul_hi_u32 v7, v1, 24
	v_mul_lo_u32 v1, v1, 24
	v_add_u32_e32 v2, v7, v2
	v_add_co_u32_e32 v1, vcc, v5, v1
	v_addc_co_u32_e32 v2, vcc, v6, v2, vcc
	global_load_dwordx2 v[1:2], v[1:2], off glc
	s_waitcnt vmcnt(0)
	global_atomic_cmpswap_x2 v[5:6], v0, v[1:4], s[26:27] offset:24 glc
	s_waitcnt vmcnt(0)
	buffer_wbinvl1_vol
	v_cmp_ne_u64_e32 vcc, v[5:6], v[3:4]
	s_and_saveexec_b64 s[8:9], vcc
	s_cbranch_execz .LBB1_167
; %bb.164:
	s_mov_b64 s[10:11], 0
.LBB1_165:                              ; =>This Inner Loop Header: Depth=1
	s_sleep 1
	global_load_dwordx2 v[1:2], v0, s[26:27] offset:40
	global_load_dwordx2 v[7:8], v0, s[26:27]
	v_mov_b32_e32 v3, v5
	v_mov_b32_e32 v4, v6
	s_waitcnt vmcnt(0)
	v_and_b32_e32 v1, v1, v3
	v_mad_u64_u32 v[5:6], s[12:13], v1, 24, v[7:8]
	v_and_b32_e32 v2, v2, v4
	v_mov_b32_e32 v1, v6
	v_mad_u64_u32 v[1:2], s[12:13], v2, 24, v[1:2]
	v_mov_b32_e32 v6, v1
	global_load_dwordx2 v[1:2], v[5:6], off glc
	s_waitcnt vmcnt(0)
	global_atomic_cmpswap_x2 v[5:6], v0, v[1:4], s[26:27] offset:24 glc
	s_waitcnt vmcnt(0)
	buffer_wbinvl1_vol
	v_cmp_eq_u64_e32 vcc, v[5:6], v[3:4]
	s_or_b64 s[10:11], vcc, s[10:11]
	s_andn2_b64 exec, exec, s[10:11]
	s_cbranch_execnz .LBB1_165
; %bb.166:
	s_or_b64 exec, exec, s[10:11]
.LBB1_167:
	s_or_b64 exec, exec, s[8:9]
.LBB1_168:
	s_or_b64 exec, exec, s[6:7]
	v_mov_b32_e32 v4, 0
	global_load_dwordx2 v[7:8], v4, s[26:27] offset:40
	global_load_dwordx4 v[0:3], v4, s[26:27]
	v_readfirstlane_b32 s6, v5
	v_readfirstlane_b32 s7, v6
	s_mov_b64 s[8:9], exec
	s_waitcnt vmcnt(0)
	v_readfirstlane_b32 s10, v7
	v_readfirstlane_b32 s11, v8
	s_and_b64 s[10:11], s[6:7], s[10:11]
	s_mul_i32 s12, s11, 24
	s_mul_hi_u32 s13, s10, 24
	s_mul_i32 s14, s10, 24
	s_add_i32 s12, s13, s12
	v_mov_b32_e32 v5, s12
	v_add_co_u32_e32 v7, vcc, s14, v0
	v_addc_co_u32_e32 v8, vcc, v1, v5, vcc
	s_and_saveexec_b64 s[12:13], s[4:5]
	s_cbranch_execz .LBB1_170
; %bb.169:
	v_mov_b32_e32 v10, s9
	v_mov_b32_e32 v9, s8
	;; [unrolled: 1-line block ×4, first 2 shown]
	global_store_dwordx4 v[7:8], v[9:12], off offset:8
.LBB1_170:
	s_or_b64 exec, exec, s[12:13]
	s_lshl_b64 s[8:9], s[10:11], 12
	v_mov_b32_e32 v5, s9
	v_add_co_u32_e32 v2, vcc, s8, v2
	v_addc_co_u32_e32 v11, vcc, v3, v5, vcc
	s_mov_b32 s8, 0
	v_mov_b32_e32 v3, 33
	v_mov_b32_e32 v5, v4
	;; [unrolled: 1-line block ×3, first 2 shown]
	v_readfirstlane_b32 s12, v2
	v_readfirstlane_b32 s13, v11
	v_add_co_u32_e32 v9, vcc, v2, v38
	s_mov_b32 s9, s8
	s_mov_b32 s10, s8
	;; [unrolled: 1-line block ×3, first 2 shown]
	s_nop 0
	global_store_dwordx4 v38, v[3:6], s[12:13]
	v_mov_b32_e32 v2, s8
	v_addc_co_u32_e32 v10, vcc, 0, v11, vcc
	v_mov_b32_e32 v3, s9
	v_mov_b32_e32 v4, s10
	;; [unrolled: 1-line block ×3, first 2 shown]
	global_store_dwordx4 v38, v[2:5], s[12:13] offset:16
	global_store_dwordx4 v38, v[2:5], s[12:13] offset:32
	;; [unrolled: 1-line block ×3, first 2 shown]
	s_and_saveexec_b64 s[8:9], s[4:5]
	s_cbranch_execz .LBB1_178
; %bb.171:
	v_mov_b32_e32 v6, 0
	global_load_dwordx2 v[13:14], v6, s[26:27] offset:32 glc
	global_load_dwordx2 v[2:3], v6, s[26:27] offset:40
	v_mov_b32_e32 v11, s6
	v_mov_b32_e32 v12, s7
	s_waitcnt vmcnt(0)
	v_readfirstlane_b32 s10, v2
	v_readfirstlane_b32 s11, v3
	s_and_b64 s[10:11], s[10:11], s[6:7]
	s_mul_i32 s11, s11, 24
	s_mul_hi_u32 s12, s10, 24
	s_mul_i32 s10, s10, 24
	s_add_i32 s11, s12, s11
	v_mov_b32_e32 v2, s11
	v_add_co_u32_e32 v4, vcc, s10, v0
	v_addc_co_u32_e32 v5, vcc, v1, v2, vcc
	global_store_dwordx2 v[4:5], v[13:14], off
	s_waitcnt vmcnt(0)
	global_atomic_cmpswap_x2 v[2:3], v6, v[11:14], s[26:27] offset:32 glc
	s_waitcnt vmcnt(0)
	v_cmp_ne_u64_e32 vcc, v[2:3], v[13:14]
	s_and_saveexec_b64 s[10:11], vcc
	s_cbranch_execz .LBB1_174
; %bb.172:
	s_mov_b64 s[12:13], 0
.LBB1_173:                              ; =>This Inner Loop Header: Depth=1
	s_sleep 1
	global_store_dwordx2 v[4:5], v[2:3], off
	v_mov_b32_e32 v0, s6
	v_mov_b32_e32 v1, s7
	s_waitcnt vmcnt(0)
	global_atomic_cmpswap_x2 v[0:1], v6, v[0:3], s[26:27] offset:32 glc
	s_waitcnt vmcnt(0)
	v_cmp_eq_u64_e32 vcc, v[0:1], v[2:3]
	v_mov_b32_e32 v3, v1
	s_or_b64 s[12:13], vcc, s[12:13]
	v_mov_b32_e32 v2, v0
	s_andn2_b64 exec, exec, s[12:13]
	s_cbranch_execnz .LBB1_173
.LBB1_174:
	s_or_b64 exec, exec, s[10:11]
	v_mov_b32_e32 v3, 0
	global_load_dwordx2 v[0:1], v3, s[26:27] offset:16
	s_mov_b64 s[10:11], exec
	v_mbcnt_lo_u32_b32 v2, s10, 0
	v_mbcnt_hi_u32_b32 v2, s11, v2
	v_cmp_eq_u32_e32 vcc, 0, v2
	s_and_saveexec_b64 s[12:13], vcc
	s_cbranch_execz .LBB1_176
; %bb.175:
	s_bcnt1_i32_b64 s10, s[10:11]
	v_mov_b32_e32 v2, s10
	s_waitcnt vmcnt(0)
	global_atomic_add_x2 v[0:1], v[2:3], off offset:8
.LBB1_176:
	s_or_b64 exec, exec, s[12:13]
	s_waitcnt vmcnt(0)
	global_load_dwordx2 v[2:3], v[0:1], off offset:16
	s_waitcnt vmcnt(0)
	v_cmp_eq_u64_e32 vcc, 0, v[2:3]
	s_cbranch_vccnz .LBB1_178
; %bb.177:
	global_load_dword v0, v[0:1], off offset:24
	v_mov_b32_e32 v1, 0
	s_waitcnt vmcnt(0)
	global_store_dwordx2 v[2:3], v[0:1], off
	v_and_b32_e32 v0, 0xffffff, v0
	v_readfirstlane_b32 m0, v0
	s_sendmsg sendmsg(MSG_INTERRUPT)
.LBB1_178:
	s_or_b64 exec, exec, s[8:9]
	s_branch .LBB1_182
.LBB1_179:                              ;   in Loop: Header=BB1_182 Depth=1
	s_or_b64 exec, exec, s[8:9]
	v_readfirstlane_b32 s8, v0
	s_cmp_eq_u32 s8, 0
	s_cbranch_scc1 .LBB1_181
; %bb.180:                              ;   in Loop: Header=BB1_182 Depth=1
	s_sleep 1
	s_cbranch_execnz .LBB1_182
	s_branch .LBB1_184
.LBB1_181:
	s_branch .LBB1_184
.LBB1_182:                              ; =>This Inner Loop Header: Depth=1
	v_mov_b32_e32 v0, 1
	s_and_saveexec_b64 s[8:9], s[4:5]
	s_cbranch_execz .LBB1_179
; %bb.183:                              ;   in Loop: Header=BB1_182 Depth=1
	global_load_dword v0, v[7:8], off offset:20 glc
	s_waitcnt vmcnt(0)
	buffer_wbinvl1_vol
	v_and_b32_e32 v0, 1, v0
	s_branch .LBB1_179
.LBB1_184:
	global_load_dwordx2 v[0:1], v[9:10], off
	s_and_saveexec_b64 s[8:9], s[4:5]
	s_cbranch_execz .LBB1_187
; %bb.185:
	v_mov_b32_e32 v8, 0
	global_load_dwordx2 v[4:5], v8, s[26:27] offset:40
	global_load_dwordx2 v[9:10], v8, s[26:27] offset:24 glc
	global_load_dwordx2 v[6:7], v8, s[26:27]
	v_mov_b32_e32 v3, s7
	s_mov_b64 s[4:5], 0
	s_waitcnt vmcnt(0)
	v_add_co_u32_e32 v11, vcc, 1, v4
	v_addc_co_u32_e32 v12, vcc, 0, v5, vcc
	v_add_co_u32_e32 v2, vcc, s6, v11
	v_addc_co_u32_e32 v3, vcc, v12, v3, vcc
	v_cmp_eq_u64_e32 vcc, 0, v[2:3]
	v_cndmask_b32_e32 v3, v3, v12, vcc
	v_cndmask_b32_e32 v2, v2, v11, vcc
	v_and_b32_e32 v5, v3, v5
	v_and_b32_e32 v4, v2, v4
	v_mul_lo_u32 v5, v5, 24
	v_mul_hi_u32 v11, v4, 24
	v_mul_lo_u32 v12, v4, 24
	v_mov_b32_e32 v4, v9
	v_add_u32_e32 v5, v11, v5
	v_add_co_u32_e32 v6, vcc, v6, v12
	v_addc_co_u32_e32 v7, vcc, v7, v5, vcc
	global_store_dwordx2 v[6:7], v[9:10], off
	v_mov_b32_e32 v5, v10
	s_waitcnt vmcnt(0)
	global_atomic_cmpswap_x2 v[4:5], v8, v[2:5], s[26:27] offset:24 glc
	s_waitcnt vmcnt(0)
	v_cmp_ne_u64_e32 vcc, v[4:5], v[9:10]
	s_and_b64 exec, exec, vcc
	s_cbranch_execz .LBB1_187
.LBB1_186:                              ; =>This Inner Loop Header: Depth=1
	s_sleep 1
	global_store_dwordx2 v[6:7], v[4:5], off
	s_waitcnt vmcnt(0)
	global_atomic_cmpswap_x2 v[9:10], v8, v[2:5], s[26:27] offset:24 glc
	s_waitcnt vmcnt(0)
	v_cmp_eq_u64_e32 vcc, v[9:10], v[4:5]
	v_mov_b32_e32 v4, v9
	s_or_b64 s[4:5], vcc, s[4:5]
	v_mov_b32_e32 v5, v10
	s_andn2_b64 exec, exec, s[4:5]
	s_cbranch_execnz .LBB1_186
.LBB1_187:
	s_or_b64 exec, exec, s[8:9]
	s_and_b64 vcc, exec, s[28:29]
	s_cbranch_vccz .LBB1_272
; %bb.188:
	s_waitcnt vmcnt(0)
	v_and_b32_e32 v32, 2, v0
	v_mov_b32_e32 v28, 0
	v_and_b32_e32 v2, -3, v0
	v_mov_b32_e32 v3, v1
	s_mov_b64 s[8:9], 4
	v_mov_b32_e32 v6, 2
	v_mov_b32_e32 v7, 1
	s_getpc_b64 s[6:7]
	s_add_u32 s6, s6, .str.7@rel32@lo+4
	s_addc_u32 s7, s7, .str.7@rel32@hi+12
	s_branch .LBB1_190
.LBB1_189:                              ;   in Loop: Header=BB1_190 Depth=1
	s_or_b64 exec, exec, s[14:15]
	s_sub_u32 s8, s8, s10
	s_subb_u32 s9, s9, s11
	s_add_u32 s6, s6, s10
	s_addc_u32 s7, s7, s11
	s_cmp_lg_u64 s[8:9], 0
	s_cbranch_scc0 .LBB1_271
.LBB1_190:                              ; =>This Loop Header: Depth=1
                                        ;     Child Loop BB1_193 Depth 2
                                        ;     Child Loop BB1_200 Depth 2
                                        ;     Child Loop BB1_208 Depth 2
                                        ;     Child Loop BB1_216 Depth 2
                                        ;     Child Loop BB1_224 Depth 2
                                        ;     Child Loop BB1_232 Depth 2
                                        ;     Child Loop BB1_240 Depth 2
                                        ;     Child Loop BB1_248 Depth 2
                                        ;     Child Loop BB1_256 Depth 2
                                        ;     Child Loop BB1_265 Depth 2
                                        ;     Child Loop BB1_270 Depth 2
	v_cmp_lt_u64_e64 s[4:5], s[8:9], 56
	v_cmp_gt_u64_e64 s[12:13], s[8:9], 7
	s_and_b64 s[4:5], s[4:5], exec
	s_cselect_b32 s11, s9, 0
	s_cselect_b32 s10, s8, 56
	s_and_b64 vcc, exec, s[12:13]
	s_cbranch_vccnz .LBB1_195
; %bb.191:                              ;   in Loop: Header=BB1_190 Depth=1
	v_mov_b32_e32 v10, 0
	s_cmp_eq_u64 s[8:9], 0
	v_mov_b32_e32 v11, 0
	s_mov_b64 s[4:5], 0
	s_cbranch_scc1 .LBB1_194
; %bb.192:                              ;   in Loop: Header=BB1_190 Depth=1
	v_mov_b32_e32 v10, 0
	s_lshl_b64 s[12:13], s[10:11], 3
	s_mov_b64 s[14:15], 0
	v_mov_b32_e32 v11, 0
	s_mov_b64 s[16:17], s[6:7]
.LBB1_193:                              ;   Parent Loop BB1_190 Depth=1
                                        ; =>  This Inner Loop Header: Depth=2
	global_load_ubyte v4, v28, s[16:17]
	s_waitcnt vmcnt(0)
	v_and_b32_e32 v27, 0xffff, v4
	v_lshlrev_b64 v[4:5], s14, v[27:28]
	s_add_u32 s14, s14, 8
	s_addc_u32 s15, s15, 0
	s_add_u32 s16, s16, 1
	s_addc_u32 s17, s17, 0
	v_or_b32_e32 v10, v4, v10
	s_cmp_lg_u32 s12, s14
	v_or_b32_e32 v11, v5, v11
	s_cbranch_scc1 .LBB1_193
.LBB1_194:                              ;   in Loop: Header=BB1_190 Depth=1
	s_mov_b32 s16, 0
	s_andn2_b64 vcc, exec, s[4:5]
	s_mov_b64 s[4:5], s[6:7]
	s_cbranch_vccz .LBB1_196
	s_branch .LBB1_197
.LBB1_195:                              ;   in Loop: Header=BB1_190 Depth=1
                                        ; implicit-def: $vgpr10_vgpr11
                                        ; implicit-def: $sgpr16
	s_mov_b64 s[4:5], s[6:7]
.LBB1_196:                              ;   in Loop: Header=BB1_190 Depth=1
	global_load_dwordx2 v[10:11], v28, s[6:7]
	s_add_i32 s16, s10, -8
	s_add_u32 s4, s6, 8
	s_addc_u32 s5, s7, 0
.LBB1_197:                              ;   in Loop: Header=BB1_190 Depth=1
	s_cmp_gt_u32 s16, 7
	s_cbranch_scc1 .LBB1_201
; %bb.198:                              ;   in Loop: Header=BB1_190 Depth=1
	s_cmp_eq_u32 s16, 0
	s_cbranch_scc1 .LBB1_202
; %bb.199:                              ;   in Loop: Header=BB1_190 Depth=1
	v_mov_b32_e32 v12, 0
	s_mov_b64 s[12:13], 0
	v_mov_b32_e32 v13, 0
	s_mov_b64 s[14:15], 0
.LBB1_200:                              ;   Parent Loop BB1_190 Depth=1
                                        ; =>  This Inner Loop Header: Depth=2
	s_add_u32 s18, s4, s14
	s_addc_u32 s19, s5, s15
	global_load_ubyte v4, v28, s[18:19]
	s_add_u32 s14, s14, 1
	s_addc_u32 s15, s15, 0
	s_waitcnt vmcnt(0)
	v_and_b32_e32 v27, 0xffff, v4
	v_lshlrev_b64 v[4:5], s12, v[27:28]
	s_add_u32 s12, s12, 8
	s_addc_u32 s13, s13, 0
	v_or_b32_e32 v12, v4, v12
	s_cmp_lg_u32 s16, s14
	v_or_b32_e32 v13, v5, v13
	s_cbranch_scc1 .LBB1_200
	s_branch .LBB1_203
.LBB1_201:                              ;   in Loop: Header=BB1_190 Depth=1
                                        ; implicit-def: $vgpr12_vgpr13
                                        ; implicit-def: $sgpr17
	s_branch .LBB1_204
.LBB1_202:                              ;   in Loop: Header=BB1_190 Depth=1
	v_mov_b32_e32 v12, 0
	v_mov_b32_e32 v13, 0
.LBB1_203:                              ;   in Loop: Header=BB1_190 Depth=1
	s_mov_b32 s17, 0
	s_cbranch_execnz .LBB1_205
.LBB1_204:                              ;   in Loop: Header=BB1_190 Depth=1
	global_load_dwordx2 v[12:13], v28, s[4:5]
	s_add_i32 s17, s16, -8
	s_add_u32 s4, s4, 8
	s_addc_u32 s5, s5, 0
.LBB1_205:                              ;   in Loop: Header=BB1_190 Depth=1
	s_cmp_gt_u32 s17, 7
	s_cbranch_scc1 .LBB1_209
; %bb.206:                              ;   in Loop: Header=BB1_190 Depth=1
	s_cmp_eq_u32 s17, 0
	s_cbranch_scc1 .LBB1_210
; %bb.207:                              ;   in Loop: Header=BB1_190 Depth=1
	v_mov_b32_e32 v14, 0
	s_mov_b64 s[12:13], 0
	v_mov_b32_e32 v15, 0
	s_mov_b64 s[14:15], 0
.LBB1_208:                              ;   Parent Loop BB1_190 Depth=1
                                        ; =>  This Inner Loop Header: Depth=2
	s_add_u32 s18, s4, s14
	s_addc_u32 s19, s5, s15
	global_load_ubyte v4, v28, s[18:19]
	s_add_u32 s14, s14, 1
	s_addc_u32 s15, s15, 0
	s_waitcnt vmcnt(0)
	v_and_b32_e32 v27, 0xffff, v4
	v_lshlrev_b64 v[4:5], s12, v[27:28]
	s_add_u32 s12, s12, 8
	s_addc_u32 s13, s13, 0
	v_or_b32_e32 v14, v4, v14
	s_cmp_lg_u32 s17, s14
	v_or_b32_e32 v15, v5, v15
	s_cbranch_scc1 .LBB1_208
	s_branch .LBB1_211
.LBB1_209:                              ;   in Loop: Header=BB1_190 Depth=1
                                        ; implicit-def: $sgpr16
	s_branch .LBB1_212
.LBB1_210:                              ;   in Loop: Header=BB1_190 Depth=1
	v_mov_b32_e32 v14, 0
	v_mov_b32_e32 v15, 0
.LBB1_211:                              ;   in Loop: Header=BB1_190 Depth=1
	s_mov_b32 s16, 0
	s_cbranch_execnz .LBB1_213
.LBB1_212:                              ;   in Loop: Header=BB1_190 Depth=1
	global_load_dwordx2 v[14:15], v28, s[4:5]
	s_add_i32 s16, s17, -8
	s_add_u32 s4, s4, 8
	s_addc_u32 s5, s5, 0
.LBB1_213:                              ;   in Loop: Header=BB1_190 Depth=1
	s_cmp_gt_u32 s16, 7
	s_cbranch_scc1 .LBB1_217
; %bb.214:                              ;   in Loop: Header=BB1_190 Depth=1
	s_cmp_eq_u32 s16, 0
	s_cbranch_scc1 .LBB1_218
; %bb.215:                              ;   in Loop: Header=BB1_190 Depth=1
	v_mov_b32_e32 v16, 0
	s_mov_b64 s[12:13], 0
	v_mov_b32_e32 v17, 0
	s_mov_b64 s[14:15], 0
.LBB1_216:                              ;   Parent Loop BB1_190 Depth=1
                                        ; =>  This Inner Loop Header: Depth=2
	s_add_u32 s18, s4, s14
	s_addc_u32 s19, s5, s15
	global_load_ubyte v4, v28, s[18:19]
	s_add_u32 s14, s14, 1
	s_addc_u32 s15, s15, 0
	s_waitcnt vmcnt(0)
	v_and_b32_e32 v27, 0xffff, v4
	v_lshlrev_b64 v[4:5], s12, v[27:28]
	s_add_u32 s12, s12, 8
	s_addc_u32 s13, s13, 0
	v_or_b32_e32 v16, v4, v16
	s_cmp_lg_u32 s16, s14
	v_or_b32_e32 v17, v5, v17
	s_cbranch_scc1 .LBB1_216
	s_branch .LBB1_219
.LBB1_217:                              ;   in Loop: Header=BB1_190 Depth=1
                                        ; implicit-def: $vgpr16_vgpr17
                                        ; implicit-def: $sgpr17
	s_branch .LBB1_220
.LBB1_218:                              ;   in Loop: Header=BB1_190 Depth=1
	v_mov_b32_e32 v16, 0
	v_mov_b32_e32 v17, 0
.LBB1_219:                              ;   in Loop: Header=BB1_190 Depth=1
	s_mov_b32 s17, 0
	s_cbranch_execnz .LBB1_221
.LBB1_220:                              ;   in Loop: Header=BB1_190 Depth=1
	global_load_dwordx2 v[16:17], v28, s[4:5]
	s_add_i32 s17, s16, -8
	s_add_u32 s4, s4, 8
	s_addc_u32 s5, s5, 0
.LBB1_221:                              ;   in Loop: Header=BB1_190 Depth=1
	s_cmp_gt_u32 s17, 7
	s_cbranch_scc1 .LBB1_225
; %bb.222:                              ;   in Loop: Header=BB1_190 Depth=1
	s_cmp_eq_u32 s17, 0
	s_cbranch_scc1 .LBB1_226
; %bb.223:                              ;   in Loop: Header=BB1_190 Depth=1
	v_mov_b32_e32 v18, 0
	s_mov_b64 s[12:13], 0
	v_mov_b32_e32 v19, 0
	s_mov_b64 s[14:15], 0
.LBB1_224:                              ;   Parent Loop BB1_190 Depth=1
                                        ; =>  This Inner Loop Header: Depth=2
	s_add_u32 s18, s4, s14
	s_addc_u32 s19, s5, s15
	global_load_ubyte v4, v28, s[18:19]
	s_add_u32 s14, s14, 1
	s_addc_u32 s15, s15, 0
	s_waitcnt vmcnt(0)
	v_and_b32_e32 v27, 0xffff, v4
	v_lshlrev_b64 v[4:5], s12, v[27:28]
	s_add_u32 s12, s12, 8
	s_addc_u32 s13, s13, 0
	v_or_b32_e32 v18, v4, v18
	s_cmp_lg_u32 s17, s14
	v_or_b32_e32 v19, v5, v19
	s_cbranch_scc1 .LBB1_224
	s_branch .LBB1_227
.LBB1_225:                              ;   in Loop: Header=BB1_190 Depth=1
                                        ; implicit-def: $sgpr16
	s_branch .LBB1_228
.LBB1_226:                              ;   in Loop: Header=BB1_190 Depth=1
	v_mov_b32_e32 v18, 0
	v_mov_b32_e32 v19, 0
.LBB1_227:                              ;   in Loop: Header=BB1_190 Depth=1
	s_mov_b32 s16, 0
	s_cbranch_execnz .LBB1_229
.LBB1_228:                              ;   in Loop: Header=BB1_190 Depth=1
	global_load_dwordx2 v[18:19], v28, s[4:5]
	s_add_i32 s16, s17, -8
	s_add_u32 s4, s4, 8
	s_addc_u32 s5, s5, 0
.LBB1_229:                              ;   in Loop: Header=BB1_190 Depth=1
	s_cmp_gt_u32 s16, 7
	s_cbranch_scc1 .LBB1_233
; %bb.230:                              ;   in Loop: Header=BB1_190 Depth=1
	s_cmp_eq_u32 s16, 0
	s_cbranch_scc1 .LBB1_234
; %bb.231:                              ;   in Loop: Header=BB1_190 Depth=1
	v_mov_b32_e32 v20, 0
	s_mov_b64 s[12:13], 0
	v_mov_b32_e32 v21, 0
	s_mov_b64 s[14:15], 0
.LBB1_232:                              ;   Parent Loop BB1_190 Depth=1
                                        ; =>  This Inner Loop Header: Depth=2
	s_add_u32 s18, s4, s14
	s_addc_u32 s19, s5, s15
	global_load_ubyte v4, v28, s[18:19]
	s_add_u32 s14, s14, 1
	s_addc_u32 s15, s15, 0
	s_waitcnt vmcnt(0)
	v_and_b32_e32 v27, 0xffff, v4
	v_lshlrev_b64 v[4:5], s12, v[27:28]
	s_add_u32 s12, s12, 8
	s_addc_u32 s13, s13, 0
	v_or_b32_e32 v20, v4, v20
	s_cmp_lg_u32 s16, s14
	v_or_b32_e32 v21, v5, v21
	s_cbranch_scc1 .LBB1_232
	s_branch .LBB1_235
.LBB1_233:                              ;   in Loop: Header=BB1_190 Depth=1
                                        ; implicit-def: $vgpr20_vgpr21
                                        ; implicit-def: $sgpr17
	s_branch .LBB1_236
.LBB1_234:                              ;   in Loop: Header=BB1_190 Depth=1
	v_mov_b32_e32 v20, 0
	v_mov_b32_e32 v21, 0
.LBB1_235:                              ;   in Loop: Header=BB1_190 Depth=1
	s_mov_b32 s17, 0
	s_cbranch_execnz .LBB1_237
.LBB1_236:                              ;   in Loop: Header=BB1_190 Depth=1
	global_load_dwordx2 v[20:21], v28, s[4:5]
	s_add_i32 s17, s16, -8
	s_add_u32 s4, s4, 8
	s_addc_u32 s5, s5, 0
.LBB1_237:                              ;   in Loop: Header=BB1_190 Depth=1
	s_cmp_gt_u32 s17, 7
	s_cbranch_scc1 .LBB1_241
; %bb.238:                              ;   in Loop: Header=BB1_190 Depth=1
	s_cmp_eq_u32 s17, 0
	s_cbranch_scc1 .LBB1_242
; %bb.239:                              ;   in Loop: Header=BB1_190 Depth=1
	v_mov_b32_e32 v22, 0
	s_mov_b64 s[12:13], 0
	v_mov_b32_e32 v23, 0
	s_mov_b64 s[14:15], s[4:5]
.LBB1_240:                              ;   Parent Loop BB1_190 Depth=1
                                        ; =>  This Inner Loop Header: Depth=2
	global_load_ubyte v4, v28, s[14:15]
	s_add_i32 s17, s17, -1
	s_waitcnt vmcnt(0)
	v_and_b32_e32 v27, 0xffff, v4
	v_lshlrev_b64 v[4:5], s12, v[27:28]
	s_add_u32 s12, s12, 8
	s_addc_u32 s13, s13, 0
	s_add_u32 s14, s14, 1
	s_addc_u32 s15, s15, 0
	v_or_b32_e32 v22, v4, v22
	s_cmp_lg_u32 s17, 0
	v_or_b32_e32 v23, v5, v23
	s_cbranch_scc1 .LBB1_240
	s_branch .LBB1_243
.LBB1_241:                              ;   in Loop: Header=BB1_190 Depth=1
	s_branch .LBB1_244
.LBB1_242:                              ;   in Loop: Header=BB1_190 Depth=1
	v_mov_b32_e32 v22, 0
	v_mov_b32_e32 v23, 0
.LBB1_243:                              ;   in Loop: Header=BB1_190 Depth=1
	s_cbranch_execnz .LBB1_245
.LBB1_244:                              ;   in Loop: Header=BB1_190 Depth=1
	global_load_dwordx2 v[22:23], v28, s[4:5]
.LBB1_245:                              ;   in Loop: Header=BB1_190 Depth=1
	v_readfirstlane_b32 s4, v39
	s_waitcnt vmcnt(0)
	v_mov_b32_e32 v4, 0
	v_mov_b32_e32 v5, 0
	v_cmp_eq_u32_e64 s[4:5], s4, v39
	s_and_saveexec_b64 s[12:13], s[4:5]
	s_cbranch_execz .LBB1_251
; %bb.246:                              ;   in Loop: Header=BB1_190 Depth=1
	global_load_dwordx2 v[26:27], v28, s[26:27] offset:24 glc
	s_waitcnt vmcnt(0)
	buffer_wbinvl1_vol
	global_load_dwordx2 v[4:5], v28, s[26:27] offset:40
	global_load_dwordx2 v[8:9], v28, s[26:27]
	s_waitcnt vmcnt(0)
	v_and_b32_e32 v4, v4, v26
	v_and_b32_e32 v5, v5, v27
	v_mul_lo_u32 v5, v5, 24
	v_mul_hi_u32 v24, v4, 24
	v_mul_lo_u32 v4, v4, 24
	v_add_u32_e32 v5, v24, v5
	v_add_co_u32_e32 v4, vcc, v8, v4
	v_addc_co_u32_e32 v5, vcc, v9, v5, vcc
	global_load_dwordx2 v[24:25], v[4:5], off glc
	s_waitcnt vmcnt(0)
	global_atomic_cmpswap_x2 v[4:5], v28, v[24:27], s[26:27] offset:24 glc
	s_waitcnt vmcnt(0)
	buffer_wbinvl1_vol
	v_cmp_ne_u64_e32 vcc, v[4:5], v[26:27]
	s_and_saveexec_b64 s[14:15], vcc
	s_cbranch_execz .LBB1_250
; %bb.247:                              ;   in Loop: Header=BB1_190 Depth=1
	s_mov_b64 s[16:17], 0
.LBB1_248:                              ;   Parent Loop BB1_190 Depth=1
                                        ; =>  This Inner Loop Header: Depth=2
	s_sleep 1
	global_load_dwordx2 v[8:9], v28, s[26:27] offset:40
	global_load_dwordx2 v[24:25], v28, s[26:27]
	v_mov_b32_e32 v27, v5
	v_mov_b32_e32 v26, v4
	s_waitcnt vmcnt(0)
	v_and_b32_e32 v4, v8, v26
	v_mad_u64_u32 v[4:5], s[18:19], v4, 24, v[24:25]
	v_and_b32_e32 v8, v9, v27
	v_mad_u64_u32 v[8:9], s[18:19], v8, 24, v[5:6]
	v_mov_b32_e32 v5, v8
	global_load_dwordx2 v[24:25], v[4:5], off glc
	s_waitcnt vmcnt(0)
	global_atomic_cmpswap_x2 v[4:5], v28, v[24:27], s[26:27] offset:24 glc
	s_waitcnt vmcnt(0)
	buffer_wbinvl1_vol
	v_cmp_eq_u64_e32 vcc, v[4:5], v[26:27]
	s_or_b64 s[16:17], vcc, s[16:17]
	s_andn2_b64 exec, exec, s[16:17]
	s_cbranch_execnz .LBB1_248
; %bb.249:                              ;   in Loop: Header=BB1_190 Depth=1
	s_or_b64 exec, exec, s[16:17]
.LBB1_250:                              ;   in Loop: Header=BB1_190 Depth=1
	s_or_b64 exec, exec, s[14:15]
.LBB1_251:                              ;   in Loop: Header=BB1_190 Depth=1
	s_or_b64 exec, exec, s[12:13]
	global_load_dwordx2 v[8:9], v28, s[26:27] offset:40
	global_load_dwordx4 v[24:27], v28, s[26:27]
	v_readfirstlane_b32 s12, v4
	v_readfirstlane_b32 s13, v5
	s_mov_b64 s[14:15], exec
	s_waitcnt vmcnt(0)
	v_readfirstlane_b32 s16, v8
	v_readfirstlane_b32 s17, v9
	s_and_b64 s[16:17], s[12:13], s[16:17]
	s_mul_i32 s18, s17, 24
	s_mul_hi_u32 s19, s16, 24
	s_mul_i32 s20, s16, 24
	s_add_i32 s18, s19, s18
	v_mov_b32_e32 v4, s18
	v_add_co_u32_e32 v29, vcc, s20, v24
	v_addc_co_u32_e32 v30, vcc, v25, v4, vcc
	s_and_saveexec_b64 s[18:19], s[4:5]
	s_cbranch_execz .LBB1_253
; %bb.252:                              ;   in Loop: Header=BB1_190 Depth=1
	v_mov_b32_e32 v4, s14
	v_mov_b32_e32 v5, s15
	global_store_dwordx4 v[29:30], v[4:7], off offset:8
.LBB1_253:                              ;   in Loop: Header=BB1_190 Depth=1
	s_or_b64 exec, exec, s[18:19]
	s_lshl_b64 s[14:15], s[16:17], 12
	v_mov_b32_e32 v4, s15
	v_add_co_u32_e32 v26, vcc, s14, v26
	v_addc_co_u32_e32 v33, vcc, v27, v4, vcc
	v_cmp_gt_u64_e64 vcc, s[8:9], 56
	v_or_b32_e32 v5, v2, v32
	s_lshl_b32 s14, s10, 2
	v_cndmask_b32_e32 v2, v5, v2, vcc
	s_add_i32 s14, s14, 28
	v_or_b32_e32 v4, 0, v3
	s_and_b32 s14, s14, 0x1e0
	v_and_b32_e32 v2, 0xffffff1f, v2
	v_cndmask_b32_e32 v9, v4, v3, vcc
	v_or_b32_e32 v8, s14, v2
	v_readfirstlane_b32 s14, v26
	v_readfirstlane_b32 s15, v33
	s_nop 4
	global_store_dwordx4 v38, v[8:11], s[14:15]
	global_store_dwordx4 v38, v[12:15], s[14:15] offset:16
	global_store_dwordx4 v38, v[16:19], s[14:15] offset:32
	;; [unrolled: 1-line block ×3, first 2 shown]
	s_and_saveexec_b64 s[14:15], s[4:5]
	s_cbranch_execz .LBB1_261
; %bb.254:                              ;   in Loop: Header=BB1_190 Depth=1
	global_load_dwordx2 v[12:13], v28, s[26:27] offset:32 glc
	global_load_dwordx2 v[2:3], v28, s[26:27] offset:40
	v_mov_b32_e32 v10, s12
	v_mov_b32_e32 v11, s13
	s_waitcnt vmcnt(0)
	v_readfirstlane_b32 s16, v2
	v_readfirstlane_b32 s17, v3
	s_and_b64 s[16:17], s[16:17], s[12:13]
	s_mul_i32 s17, s17, 24
	s_mul_hi_u32 s18, s16, 24
	s_mul_i32 s16, s16, 24
	s_add_i32 s17, s18, s17
	v_mov_b32_e32 v2, s17
	v_add_co_u32_e32 v8, vcc, s16, v24
	v_addc_co_u32_e32 v9, vcc, v25, v2, vcc
	global_store_dwordx2 v[8:9], v[12:13], off
	s_waitcnt vmcnt(0)
	global_atomic_cmpswap_x2 v[4:5], v28, v[10:13], s[26:27] offset:32 glc
	s_waitcnt vmcnt(0)
	v_cmp_ne_u64_e32 vcc, v[4:5], v[12:13]
	s_and_saveexec_b64 s[16:17], vcc
	s_cbranch_execz .LBB1_257
; %bb.255:                              ;   in Loop: Header=BB1_190 Depth=1
	s_mov_b64 s[18:19], 0
.LBB1_256:                              ;   Parent Loop BB1_190 Depth=1
                                        ; =>  This Inner Loop Header: Depth=2
	s_sleep 1
	global_store_dwordx2 v[8:9], v[4:5], off
	v_mov_b32_e32 v2, s12
	v_mov_b32_e32 v3, s13
	s_waitcnt vmcnt(0)
	global_atomic_cmpswap_x2 v[2:3], v28, v[2:5], s[26:27] offset:32 glc
	s_waitcnt vmcnt(0)
	v_cmp_eq_u64_e32 vcc, v[2:3], v[4:5]
	v_mov_b32_e32 v5, v3
	s_or_b64 s[18:19], vcc, s[18:19]
	v_mov_b32_e32 v4, v2
	s_andn2_b64 exec, exec, s[18:19]
	s_cbranch_execnz .LBB1_256
.LBB1_257:                              ;   in Loop: Header=BB1_190 Depth=1
	s_or_b64 exec, exec, s[16:17]
	global_load_dwordx2 v[2:3], v28, s[26:27] offset:16
	s_mov_b64 s[18:19], exec
	v_mbcnt_lo_u32_b32 v4, s18, 0
	v_mbcnt_hi_u32_b32 v4, s19, v4
	v_cmp_eq_u32_e32 vcc, 0, v4
	s_and_saveexec_b64 s[16:17], vcc
	s_cbranch_execz .LBB1_259
; %bb.258:                              ;   in Loop: Header=BB1_190 Depth=1
	s_bcnt1_i32_b64 s18, s[18:19]
	v_mov_b32_e32 v27, s18
	s_waitcnt vmcnt(0)
	global_atomic_add_x2 v[2:3], v[27:28], off offset:8
.LBB1_259:                              ;   in Loop: Header=BB1_190 Depth=1
	s_or_b64 exec, exec, s[16:17]
	s_waitcnt vmcnt(0)
	global_load_dwordx2 v[4:5], v[2:3], off offset:16
	s_waitcnt vmcnt(0)
	v_cmp_eq_u64_e32 vcc, 0, v[4:5]
	s_cbranch_vccnz .LBB1_261
; %bb.260:                              ;   in Loop: Header=BB1_190 Depth=1
	global_load_dword v27, v[2:3], off offset:24
	s_waitcnt vmcnt(0)
	v_and_b32_e32 v2, 0xffffff, v27
	v_readfirstlane_b32 m0, v2
	global_store_dwordx2 v[4:5], v[27:28], off
	s_sendmsg sendmsg(MSG_INTERRUPT)
.LBB1_261:                              ;   in Loop: Header=BB1_190 Depth=1
	s_or_b64 exec, exec, s[14:15]
	v_add_co_u32_e32 v2, vcc, v26, v38
	v_addc_co_u32_e32 v3, vcc, 0, v33, vcc
	s_branch .LBB1_265
.LBB1_262:                              ;   in Loop: Header=BB1_265 Depth=2
	s_or_b64 exec, exec, s[14:15]
	v_readfirstlane_b32 s14, v4
	s_cmp_eq_u32 s14, 0
	s_cbranch_scc1 .LBB1_264
; %bb.263:                              ;   in Loop: Header=BB1_265 Depth=2
	s_sleep 1
	s_cbranch_execnz .LBB1_265
	s_branch .LBB1_267
.LBB1_264:                              ;   in Loop: Header=BB1_190 Depth=1
	s_branch .LBB1_267
.LBB1_265:                              ;   Parent Loop BB1_190 Depth=1
                                        ; =>  This Inner Loop Header: Depth=2
	v_mov_b32_e32 v4, 1
	s_and_saveexec_b64 s[14:15], s[4:5]
	s_cbranch_execz .LBB1_262
; %bb.266:                              ;   in Loop: Header=BB1_265 Depth=2
	global_load_dword v4, v[29:30], off offset:20 glc
	s_waitcnt vmcnt(0)
	buffer_wbinvl1_vol
	v_and_b32_e32 v4, 1, v4
	s_branch .LBB1_262
.LBB1_267:                              ;   in Loop: Header=BB1_190 Depth=1
	global_load_dwordx4 v[2:5], v[2:3], off
	s_and_saveexec_b64 s[14:15], s[4:5]
	s_cbranch_execz .LBB1_189
; %bb.268:                              ;   in Loop: Header=BB1_190 Depth=1
	global_load_dwordx2 v[4:5], v28, s[26:27] offset:40
	global_load_dwordx2 v[12:13], v28, s[26:27] offset:24 glc
	global_load_dwordx2 v[14:15], v28, s[26:27]
	v_mov_b32_e32 v9, s13
	s_waitcnt vmcnt(0)
	v_add_co_u32_e32 v10, vcc, 1, v4
	v_addc_co_u32_e32 v11, vcc, 0, v5, vcc
	v_add_co_u32_e32 v8, vcc, s12, v10
	v_addc_co_u32_e32 v9, vcc, v11, v9, vcc
	v_cmp_eq_u64_e32 vcc, 0, v[8:9]
	v_cndmask_b32_e32 v9, v9, v11, vcc
	v_cndmask_b32_e32 v8, v8, v10, vcc
	v_and_b32_e32 v5, v9, v5
	v_and_b32_e32 v4, v8, v4
	v_mul_lo_u32 v5, v5, 24
	v_mul_hi_u32 v11, v4, 24
	v_mul_lo_u32 v4, v4, 24
	v_mov_b32_e32 v10, v12
	v_add_u32_e32 v5, v11, v5
	v_add_co_u32_e32 v4, vcc, v14, v4
	v_addc_co_u32_e32 v5, vcc, v15, v5, vcc
	global_store_dwordx2 v[4:5], v[12:13], off
	v_mov_b32_e32 v11, v13
	s_waitcnt vmcnt(0)
	global_atomic_cmpswap_x2 v[10:11], v28, v[8:11], s[26:27] offset:24 glc
	s_waitcnt vmcnt(0)
	v_cmp_ne_u64_e32 vcc, v[10:11], v[12:13]
	s_and_b64 exec, exec, vcc
	s_cbranch_execz .LBB1_189
; %bb.269:                              ;   in Loop: Header=BB1_190 Depth=1
	s_mov_b64 s[4:5], 0
.LBB1_270:                              ;   Parent Loop BB1_190 Depth=1
                                        ; =>  This Inner Loop Header: Depth=2
	s_sleep 1
	global_store_dwordx2 v[4:5], v[10:11], off
	s_waitcnt vmcnt(0)
	global_atomic_cmpswap_x2 v[12:13], v28, v[8:11], s[26:27] offset:24 glc
	s_waitcnt vmcnt(0)
	v_cmp_eq_u64_e32 vcc, v[12:13], v[10:11]
	v_mov_b32_e32 v10, v12
	s_or_b64 s[4:5], vcc, s[4:5]
	v_mov_b32_e32 v11, v13
	s_andn2_b64 exec, exec, s[4:5]
	s_cbranch_execnz .LBB1_270
	s_branch .LBB1_189
.LBB1_271:
	s_branch .LBB1_299
.LBB1_272:
                                        ; implicit-def: $vgpr2_vgpr3
	s_cbranch_execz .LBB1_299
; %bb.273:
	v_readfirstlane_b32 s4, v39
	v_mov_b32_e32 v8, 0
	v_mov_b32_e32 v9, 0
	v_cmp_eq_u32_e64 s[4:5], s4, v39
	s_and_saveexec_b64 s[6:7], s[4:5]
	s_cbranch_execz .LBB1_279
; %bb.274:
	s_waitcnt vmcnt(0)
	v_mov_b32_e32 v2, 0
	global_load_dwordx2 v[5:6], v2, s[26:27] offset:24 glc
	s_waitcnt vmcnt(0)
	buffer_wbinvl1_vol
	global_load_dwordx2 v[3:4], v2, s[26:27] offset:40
	global_load_dwordx2 v[7:8], v2, s[26:27]
	s_waitcnt vmcnt(0)
	v_and_b32_e32 v3, v3, v5
	v_and_b32_e32 v4, v4, v6
	v_mul_lo_u32 v4, v4, 24
	v_mul_hi_u32 v9, v3, 24
	v_mul_lo_u32 v3, v3, 24
	v_add_u32_e32 v4, v9, v4
	v_add_co_u32_e32 v3, vcc, v7, v3
	v_addc_co_u32_e32 v4, vcc, v8, v4, vcc
	global_load_dwordx2 v[3:4], v[3:4], off glc
	s_waitcnt vmcnt(0)
	global_atomic_cmpswap_x2 v[8:9], v2, v[3:6], s[26:27] offset:24 glc
	s_waitcnt vmcnt(0)
	buffer_wbinvl1_vol
	v_cmp_ne_u64_e32 vcc, v[8:9], v[5:6]
	s_and_saveexec_b64 s[8:9], vcc
	s_cbranch_execz .LBB1_278
; %bb.275:
	s_mov_b64 s[10:11], 0
.LBB1_276:                              ; =>This Inner Loop Header: Depth=1
	s_sleep 1
	global_load_dwordx2 v[3:4], v2, s[26:27] offset:40
	global_load_dwordx2 v[10:11], v2, s[26:27]
	v_mov_b32_e32 v5, v8
	v_mov_b32_e32 v6, v9
	s_waitcnt vmcnt(0)
	v_and_b32_e32 v3, v3, v5
	v_mad_u64_u32 v[7:8], s[12:13], v3, 24, v[10:11]
	v_and_b32_e32 v4, v4, v6
	v_mov_b32_e32 v3, v8
	v_mad_u64_u32 v[3:4], s[12:13], v4, 24, v[3:4]
	v_mov_b32_e32 v8, v3
	global_load_dwordx2 v[3:4], v[7:8], off glc
	s_waitcnt vmcnt(0)
	global_atomic_cmpswap_x2 v[8:9], v2, v[3:6], s[26:27] offset:24 glc
	s_waitcnt vmcnt(0)
	buffer_wbinvl1_vol
	v_cmp_eq_u64_e32 vcc, v[8:9], v[5:6]
	s_or_b64 s[10:11], vcc, s[10:11]
	s_andn2_b64 exec, exec, s[10:11]
	s_cbranch_execnz .LBB1_276
; %bb.277:
	s_or_b64 exec, exec, s[10:11]
.LBB1_278:
	s_or_b64 exec, exec, s[8:9]
.LBB1_279:
	s_or_b64 exec, exec, s[6:7]
	s_waitcnt vmcnt(0)
	v_mov_b32_e32 v2, 0
	global_load_dwordx2 v[10:11], v2, s[26:27] offset:40
	global_load_dwordx4 v[4:7], v2, s[26:27]
	v_readfirstlane_b32 s6, v8
	v_readfirstlane_b32 s7, v9
	s_mov_b64 s[8:9], exec
	s_waitcnt vmcnt(0)
	v_readfirstlane_b32 s10, v10
	v_readfirstlane_b32 s11, v11
	s_and_b64 s[10:11], s[6:7], s[10:11]
	s_mul_i32 s12, s11, 24
	s_mul_hi_u32 s13, s10, 24
	s_mul_i32 s14, s10, 24
	s_add_i32 s12, s13, s12
	v_mov_b32_e32 v3, s12
	v_add_co_u32_e32 v8, vcc, s14, v4
	v_addc_co_u32_e32 v9, vcc, v5, v3, vcc
	s_and_saveexec_b64 s[12:13], s[4:5]
	s_cbranch_execz .LBB1_281
; %bb.280:
	v_mov_b32_e32 v11, s9
	v_mov_b32_e32 v10, s8
	;; [unrolled: 1-line block ×4, first 2 shown]
	global_store_dwordx4 v[8:9], v[10:13], off offset:8
.LBB1_281:
	s_or_b64 exec, exec, s[12:13]
	s_lshl_b64 s[8:9], s[10:11], 12
	v_mov_b32_e32 v3, s9
	v_add_co_u32_e32 v10, vcc, s8, v6
	v_addc_co_u32_e32 v11, vcc, v7, v3, vcc
	s_movk_i32 s8, 0xff1f
	v_and_or_b32 v0, v0, s8, 32
	s_mov_b32 s8, 0
	v_mov_b32_e32 v3, v2
	v_readfirstlane_b32 s12, v10
	v_readfirstlane_b32 s13, v11
	v_add_co_u32_e32 v6, vcc, v10, v38
	s_mov_b32 s9, s8
	s_mov_b32 s10, s8
	;; [unrolled: 1-line block ×3, first 2 shown]
	s_nop 0
	global_store_dwordx4 v38, v[0:3], s[12:13]
	v_addc_co_u32_e32 v7, vcc, 0, v11, vcc
	v_mov_b32_e32 v0, s8
	v_mov_b32_e32 v1, s9
	v_mov_b32_e32 v2, s10
	v_mov_b32_e32 v3, s11
	global_store_dwordx4 v38, v[0:3], s[12:13] offset:16
	global_store_dwordx4 v38, v[0:3], s[12:13] offset:32
	;; [unrolled: 1-line block ×3, first 2 shown]
	s_and_saveexec_b64 s[8:9], s[4:5]
	s_cbranch_execz .LBB1_289
; %bb.282:
	v_mov_b32_e32 v10, 0
	global_load_dwordx2 v[13:14], v10, s[26:27] offset:32 glc
	global_load_dwordx2 v[0:1], v10, s[26:27] offset:40
	v_mov_b32_e32 v11, s6
	v_mov_b32_e32 v12, s7
	s_waitcnt vmcnt(0)
	v_readfirstlane_b32 s10, v0
	v_readfirstlane_b32 s11, v1
	s_and_b64 s[10:11], s[10:11], s[6:7]
	s_mul_i32 s11, s11, 24
	s_mul_hi_u32 s12, s10, 24
	s_mul_i32 s10, s10, 24
	s_add_i32 s11, s12, s11
	v_mov_b32_e32 v0, s11
	v_add_co_u32_e32 v4, vcc, s10, v4
	v_addc_co_u32_e32 v5, vcc, v5, v0, vcc
	global_store_dwordx2 v[4:5], v[13:14], off
	s_waitcnt vmcnt(0)
	global_atomic_cmpswap_x2 v[2:3], v10, v[11:14], s[26:27] offset:32 glc
	s_waitcnt vmcnt(0)
	v_cmp_ne_u64_e32 vcc, v[2:3], v[13:14]
	s_and_saveexec_b64 s[10:11], vcc
	s_cbranch_execz .LBB1_285
; %bb.283:
	s_mov_b64 s[12:13], 0
.LBB1_284:                              ; =>This Inner Loop Header: Depth=1
	s_sleep 1
	global_store_dwordx2 v[4:5], v[2:3], off
	v_mov_b32_e32 v0, s6
	v_mov_b32_e32 v1, s7
	s_waitcnt vmcnt(0)
	global_atomic_cmpswap_x2 v[0:1], v10, v[0:3], s[26:27] offset:32 glc
	s_waitcnt vmcnt(0)
	v_cmp_eq_u64_e32 vcc, v[0:1], v[2:3]
	v_mov_b32_e32 v3, v1
	s_or_b64 s[12:13], vcc, s[12:13]
	v_mov_b32_e32 v2, v0
	s_andn2_b64 exec, exec, s[12:13]
	s_cbranch_execnz .LBB1_284
.LBB1_285:
	s_or_b64 exec, exec, s[10:11]
	v_mov_b32_e32 v3, 0
	global_load_dwordx2 v[0:1], v3, s[26:27] offset:16
	s_mov_b64 s[10:11], exec
	v_mbcnt_lo_u32_b32 v2, s10, 0
	v_mbcnt_hi_u32_b32 v2, s11, v2
	v_cmp_eq_u32_e32 vcc, 0, v2
	s_and_saveexec_b64 s[12:13], vcc
	s_cbranch_execz .LBB1_287
; %bb.286:
	s_bcnt1_i32_b64 s10, s[10:11]
	v_mov_b32_e32 v2, s10
	s_waitcnt vmcnt(0)
	global_atomic_add_x2 v[0:1], v[2:3], off offset:8
.LBB1_287:
	s_or_b64 exec, exec, s[12:13]
	s_waitcnt vmcnt(0)
	global_load_dwordx2 v[2:3], v[0:1], off offset:16
	s_waitcnt vmcnt(0)
	v_cmp_eq_u64_e32 vcc, 0, v[2:3]
	s_cbranch_vccnz .LBB1_289
; %bb.288:
	global_load_dword v0, v[0:1], off offset:24
	v_mov_b32_e32 v1, 0
	s_waitcnt vmcnt(0)
	global_store_dwordx2 v[2:3], v[0:1], off
	v_and_b32_e32 v0, 0xffffff, v0
	v_readfirstlane_b32 m0, v0
	s_sendmsg sendmsg(MSG_INTERRUPT)
.LBB1_289:
	s_or_b64 exec, exec, s[8:9]
	s_branch .LBB1_293
.LBB1_290:                              ;   in Loop: Header=BB1_293 Depth=1
	s_or_b64 exec, exec, s[8:9]
	v_readfirstlane_b32 s8, v0
	s_cmp_eq_u32 s8, 0
	s_cbranch_scc1 .LBB1_292
; %bb.291:                              ;   in Loop: Header=BB1_293 Depth=1
	s_sleep 1
	s_cbranch_execnz .LBB1_293
	s_branch .LBB1_295
.LBB1_292:
	s_branch .LBB1_295
.LBB1_293:                              ; =>This Inner Loop Header: Depth=1
	v_mov_b32_e32 v0, 1
	s_and_saveexec_b64 s[8:9], s[4:5]
	s_cbranch_execz .LBB1_290
; %bb.294:                              ;   in Loop: Header=BB1_293 Depth=1
	global_load_dword v0, v[8:9], off offset:20 glc
	s_waitcnt vmcnt(0)
	buffer_wbinvl1_vol
	v_and_b32_e32 v0, 1, v0
	s_branch .LBB1_290
.LBB1_295:
	global_load_dwordx2 v[2:3], v[6:7], off
	s_and_saveexec_b64 s[8:9], s[4:5]
	s_cbranch_execz .LBB1_298
; %bb.296:
	v_mov_b32_e32 v8, 0
	global_load_dwordx2 v[0:1], v8, s[26:27] offset:40
	global_load_dwordx2 v[9:10], v8, s[26:27] offset:24 glc
	global_load_dwordx2 v[11:12], v8, s[26:27]
	v_mov_b32_e32 v5, s7
	s_mov_b64 s[4:5], 0
	s_waitcnt vmcnt(0)
	v_add_co_u32_e32 v6, vcc, 1, v0
	v_addc_co_u32_e32 v7, vcc, 0, v1, vcc
	v_add_co_u32_e32 v4, vcc, s6, v6
	v_addc_co_u32_e32 v5, vcc, v7, v5, vcc
	v_cmp_eq_u64_e32 vcc, 0, v[4:5]
	v_cndmask_b32_e32 v5, v5, v7, vcc
	v_cndmask_b32_e32 v4, v4, v6, vcc
	v_and_b32_e32 v1, v5, v1
	v_and_b32_e32 v0, v4, v0
	v_mul_lo_u32 v1, v1, 24
	v_mul_hi_u32 v7, v0, 24
	v_mul_lo_u32 v0, v0, 24
	v_mov_b32_e32 v6, v9
	v_add_u32_e32 v1, v7, v1
	v_add_co_u32_e32 v0, vcc, v11, v0
	v_addc_co_u32_e32 v1, vcc, v12, v1, vcc
	global_store_dwordx2 v[0:1], v[9:10], off
	v_mov_b32_e32 v7, v10
	s_waitcnt vmcnt(0)
	global_atomic_cmpswap_x2 v[6:7], v8, v[4:7], s[26:27] offset:24 glc
	s_waitcnt vmcnt(0)
	v_cmp_ne_u64_e32 vcc, v[6:7], v[9:10]
	s_and_b64 exec, exec, vcc
	s_cbranch_execz .LBB1_298
.LBB1_297:                              ; =>This Inner Loop Header: Depth=1
	s_sleep 1
	global_store_dwordx2 v[0:1], v[6:7], off
	s_waitcnt vmcnt(0)
	global_atomic_cmpswap_x2 v[9:10], v8, v[4:7], s[26:27] offset:24 glc
	s_waitcnt vmcnt(0)
	v_cmp_eq_u64_e32 vcc, v[9:10], v[6:7]
	v_mov_b32_e32 v6, v9
	s_or_b64 s[4:5], vcc, s[4:5]
	v_mov_b32_e32 v7, v10
	s_andn2_b64 exec, exec, s[4:5]
	s_cbranch_execnz .LBB1_297
.LBB1_298:
	s_or_b64 exec, exec, s[8:9]
.LBB1_299:
	v_readfirstlane_b32 s4, v39
	s_waitcnt vmcnt(0)
	v_mov_b32_e32 v0, 0
	v_mov_b32_e32 v1, 0
	v_cmp_eq_u32_e64 s[4:5], s4, v39
	s_and_saveexec_b64 s[6:7], s[4:5]
	s_cbranch_execz .LBB1_305
; %bb.300:
	v_mov_b32_e32 v4, 0
	global_load_dwordx2 v[7:8], v4, s[26:27] offset:24 glc
	s_waitcnt vmcnt(0)
	buffer_wbinvl1_vol
	global_load_dwordx2 v[0:1], v4, s[26:27] offset:40
	global_load_dwordx2 v[5:6], v4, s[26:27]
	s_waitcnt vmcnt(0)
	v_and_b32_e32 v0, v0, v7
	v_and_b32_e32 v1, v1, v8
	v_mul_lo_u32 v1, v1, 24
	v_mul_hi_u32 v9, v0, 24
	v_mul_lo_u32 v0, v0, 24
	v_add_u32_e32 v1, v9, v1
	v_add_co_u32_e32 v0, vcc, v5, v0
	v_addc_co_u32_e32 v1, vcc, v6, v1, vcc
	global_load_dwordx2 v[5:6], v[0:1], off glc
	s_waitcnt vmcnt(0)
	global_atomic_cmpswap_x2 v[0:1], v4, v[5:8], s[26:27] offset:24 glc
	s_waitcnt vmcnt(0)
	buffer_wbinvl1_vol
	v_cmp_ne_u64_e32 vcc, v[0:1], v[7:8]
	s_and_saveexec_b64 s[8:9], vcc
	s_cbranch_execz .LBB1_304
; %bb.301:
	s_mov_b64 s[10:11], 0
.LBB1_302:                              ; =>This Inner Loop Header: Depth=1
	s_sleep 1
	global_load_dwordx2 v[5:6], v4, s[26:27] offset:40
	global_load_dwordx2 v[9:10], v4, s[26:27]
	v_mov_b32_e32 v8, v1
	v_mov_b32_e32 v7, v0
	s_waitcnt vmcnt(0)
	v_and_b32_e32 v0, v5, v7
	v_mad_u64_u32 v[0:1], s[12:13], v0, 24, v[9:10]
	v_and_b32_e32 v5, v6, v8
	v_mad_u64_u32 v[5:6], s[12:13], v5, 24, v[1:2]
	v_mov_b32_e32 v1, v5
	global_load_dwordx2 v[5:6], v[0:1], off glc
	s_waitcnt vmcnt(0)
	global_atomic_cmpswap_x2 v[0:1], v4, v[5:8], s[26:27] offset:24 glc
	s_waitcnt vmcnt(0)
	buffer_wbinvl1_vol
	v_cmp_eq_u64_e32 vcc, v[0:1], v[7:8]
	s_or_b64 s[10:11], vcc, s[10:11]
	s_andn2_b64 exec, exec, s[10:11]
	s_cbranch_execnz .LBB1_302
; %bb.303:
	s_or_b64 exec, exec, s[10:11]
.LBB1_304:
	s_or_b64 exec, exec, s[8:9]
.LBB1_305:
	s_or_b64 exec, exec, s[6:7]
	v_mov_b32_e32 v10, 0
	global_load_dwordx2 v[4:5], v10, s[26:27] offset:40
	global_load_dwordx4 v[6:9], v10, s[26:27]
	v_readfirstlane_b32 s6, v0
	v_readfirstlane_b32 s7, v1
	s_mov_b64 s[8:9], exec
	s_waitcnt vmcnt(0)
	v_readfirstlane_b32 s10, v4
	v_readfirstlane_b32 s11, v5
	s_and_b64 s[10:11], s[6:7], s[10:11]
	s_mul_i32 s12, s11, 24
	s_mul_hi_u32 s13, s10, 24
	s_mul_i32 s14, s10, 24
	s_add_i32 s12, s13, s12
	v_mov_b32_e32 v0, s12
	v_add_co_u32_e32 v10, vcc, s14, v6
	v_addc_co_u32_e32 v11, vcc, v7, v0, vcc
	s_and_saveexec_b64 s[12:13], s[4:5]
	s_cbranch_execz .LBB1_307
; %bb.306:
	v_mov_b32_e32 v13, s9
	v_mov_b32_e32 v12, s8
	;; [unrolled: 1-line block ×4, first 2 shown]
	global_store_dwordx4 v[10:11], v[12:15], off offset:8
.LBB1_307:
	s_or_b64 exec, exec, s[12:13]
	s_lshl_b64 s[8:9], s[10:11], 12
	v_mov_b32_e32 v0, s9
	v_add_co_u32_e32 v1, vcc, s8, v8
	v_addc_co_u32_e32 v0, vcc, v9, v0, vcc
	s_movk_i32 s8, 0xff1d
	v_and_or_b32 v2, v2, s8, 34
	s_waitcnt lgkmcnt(0)
	v_ashrrev_i32_e32 v5, 31, v31
	v_mov_b32_e32 v4, v31
	v_readfirstlane_b32 s12, v1
	v_readfirstlane_b32 s13, v0
	s_mov_b32 s8, 0
	s_mov_b32 s9, s8
	;; [unrolled: 1-line block ×4, first 2 shown]
	s_nop 0
	global_store_dwordx4 v38, v[2:5], s[12:13]
	v_mov_b32_e32 v0, s8
	v_mov_b32_e32 v1, s9
	;; [unrolled: 1-line block ×4, first 2 shown]
	global_store_dwordx4 v38, v[0:3], s[12:13] offset:16
	global_store_dwordx4 v38, v[0:3], s[12:13] offset:32
	;; [unrolled: 1-line block ×3, first 2 shown]
	s_and_saveexec_b64 s[8:9], s[4:5]
	s_cbranch_execz .LBB1_315
; %bb.308:
	v_mov_b32_e32 v8, 0
	global_load_dwordx2 v[14:15], v8, s[26:27] offset:32 glc
	global_load_dwordx2 v[0:1], v8, s[26:27] offset:40
	v_mov_b32_e32 v12, s6
	v_mov_b32_e32 v13, s7
	s_waitcnt vmcnt(0)
	v_readfirstlane_b32 s10, v0
	v_readfirstlane_b32 s11, v1
	s_and_b64 s[10:11], s[10:11], s[6:7]
	s_mul_i32 s11, s11, 24
	s_mul_hi_u32 s12, s10, 24
	s_mul_i32 s10, s10, 24
	s_add_i32 s11, s12, s11
	v_mov_b32_e32 v0, s11
	v_add_co_u32_e32 v4, vcc, s10, v6
	v_addc_co_u32_e32 v5, vcc, v7, v0, vcc
	global_store_dwordx2 v[4:5], v[14:15], off
	s_waitcnt vmcnt(0)
	global_atomic_cmpswap_x2 v[2:3], v8, v[12:15], s[26:27] offset:32 glc
	s_waitcnt vmcnt(0)
	v_cmp_ne_u64_e32 vcc, v[2:3], v[14:15]
	s_and_saveexec_b64 s[10:11], vcc
	s_cbranch_execz .LBB1_311
; %bb.309:
	s_mov_b64 s[12:13], 0
.LBB1_310:                              ; =>This Inner Loop Header: Depth=1
	s_sleep 1
	global_store_dwordx2 v[4:5], v[2:3], off
	v_mov_b32_e32 v0, s6
	v_mov_b32_e32 v1, s7
	s_waitcnt vmcnt(0)
	global_atomic_cmpswap_x2 v[0:1], v8, v[0:3], s[26:27] offset:32 glc
	s_waitcnt vmcnt(0)
	v_cmp_eq_u64_e32 vcc, v[0:1], v[2:3]
	v_mov_b32_e32 v3, v1
	s_or_b64 s[12:13], vcc, s[12:13]
	v_mov_b32_e32 v2, v0
	s_andn2_b64 exec, exec, s[12:13]
	s_cbranch_execnz .LBB1_310
.LBB1_311:
	s_or_b64 exec, exec, s[10:11]
	v_mov_b32_e32 v3, 0
	global_load_dwordx2 v[0:1], v3, s[26:27] offset:16
	s_mov_b64 s[10:11], exec
	v_mbcnt_lo_u32_b32 v2, s10, 0
	v_mbcnt_hi_u32_b32 v2, s11, v2
	v_cmp_eq_u32_e32 vcc, 0, v2
	s_and_saveexec_b64 s[12:13], vcc
	s_cbranch_execz .LBB1_313
; %bb.312:
	s_bcnt1_i32_b64 s10, s[10:11]
	v_mov_b32_e32 v2, s10
	s_waitcnt vmcnt(0)
	global_atomic_add_x2 v[0:1], v[2:3], off offset:8
.LBB1_313:
	s_or_b64 exec, exec, s[12:13]
	s_waitcnt vmcnt(0)
	global_load_dwordx2 v[2:3], v[0:1], off offset:16
	s_waitcnt vmcnt(0)
	v_cmp_eq_u64_e32 vcc, 0, v[2:3]
	s_cbranch_vccnz .LBB1_315
; %bb.314:
	global_load_dword v0, v[0:1], off offset:24
	v_mov_b32_e32 v1, 0
	s_waitcnt vmcnt(0)
	global_store_dwordx2 v[2:3], v[0:1], off
	v_and_b32_e32 v0, 0xffffff, v0
	v_readfirstlane_b32 m0, v0
	s_sendmsg sendmsg(MSG_INTERRUPT)
.LBB1_315:
	s_or_b64 exec, exec, s[8:9]
	s_branch .LBB1_319
.LBB1_316:                              ;   in Loop: Header=BB1_319 Depth=1
	s_or_b64 exec, exec, s[8:9]
	v_readfirstlane_b32 s8, v0
	s_cmp_eq_u32 s8, 0
	s_cbranch_scc1 .LBB1_318
; %bb.317:                              ;   in Loop: Header=BB1_319 Depth=1
	s_sleep 1
	s_cbranch_execnz .LBB1_319
	s_branch .LBB1_321
.LBB1_318:
	s_branch .LBB1_321
.LBB1_319:                              ; =>This Inner Loop Header: Depth=1
	v_mov_b32_e32 v0, 1
	s_and_saveexec_b64 s[8:9], s[4:5]
	s_cbranch_execz .LBB1_316
; %bb.320:                              ;   in Loop: Header=BB1_319 Depth=1
	global_load_dword v0, v[10:11], off offset:20 glc
	s_waitcnt vmcnt(0)
	buffer_wbinvl1_vol
	v_and_b32_e32 v0, 1, v0
	s_branch .LBB1_316
.LBB1_321:
	s_and_saveexec_b64 s[8:9], s[4:5]
	s_cbranch_execz .LBB1_324
; %bb.322:
	v_mov_b32_e32 v6, 0
	global_load_dwordx2 v[2:3], v6, s[26:27] offset:40
	global_load_dwordx2 v[7:8], v6, s[26:27] offset:24 glc
	global_load_dwordx2 v[4:5], v6, s[26:27]
	v_mov_b32_e32 v1, s7
	s_mov_b64 s[4:5], 0
	s_waitcnt vmcnt(2)
	v_add_co_u32_e32 v9, vcc, 1, v2
	v_addc_co_u32_e32 v10, vcc, 0, v3, vcc
	v_add_co_u32_e32 v0, vcc, s6, v9
	v_addc_co_u32_e32 v1, vcc, v10, v1, vcc
	v_cmp_eq_u64_e32 vcc, 0, v[0:1]
	v_cndmask_b32_e32 v1, v1, v10, vcc
	v_cndmask_b32_e32 v0, v0, v9, vcc
	v_and_b32_e32 v3, v1, v3
	v_and_b32_e32 v2, v0, v2
	v_mul_lo_u32 v3, v3, 24
	v_mul_hi_u32 v9, v2, 24
	v_mul_lo_u32 v10, v2, 24
	s_waitcnt vmcnt(1)
	v_mov_b32_e32 v2, v7
	v_add_u32_e32 v3, v9, v3
	s_waitcnt vmcnt(0)
	v_add_co_u32_e32 v4, vcc, v4, v10
	v_addc_co_u32_e32 v5, vcc, v5, v3, vcc
	global_store_dwordx2 v[4:5], v[7:8], off
	v_mov_b32_e32 v3, v8
	s_waitcnt vmcnt(0)
	global_atomic_cmpswap_x2 v[2:3], v6, v[0:3], s[26:27] offset:24 glc
	s_waitcnt vmcnt(0)
	v_cmp_ne_u64_e32 vcc, v[2:3], v[7:8]
	s_and_b64 exec, exec, vcc
	s_cbranch_execz .LBB1_324
.LBB1_323:                              ; =>This Inner Loop Header: Depth=1
	s_sleep 1
	global_store_dwordx2 v[4:5], v[2:3], off
	s_waitcnt vmcnt(0)
	global_atomic_cmpswap_x2 v[7:8], v6, v[0:3], s[26:27] offset:24 glc
	s_waitcnt vmcnt(0)
	v_cmp_eq_u64_e32 vcc, v[7:8], v[2:3]
	v_mov_b32_e32 v2, v7
	s_or_b64 s[4:5], vcc, s[4:5]
	v_mov_b32_e32 v3, v8
	s_andn2_b64 exec, exec, s[4:5]
	s_cbranch_execnz .LBB1_323
.LBB1_324:
	s_or_b64 exec, exec, s[8:9]
	v_readlane_b32 s30, v40, 4
	v_readlane_b32 s31, v40, 5
	;; [unrolled: 1-line block ×6, first 2 shown]
	s_or_saveexec_b64 s[4:5], -1
	buffer_load_dword v40, off, s[0:3], s33 ; 4-byte Folded Reload
	s_mov_b64 exec, s[4:5]
	s_addk_i32 s32, 0xfc00
	s_mov_b32 s33, s23
	s_waitcnt vmcnt(0) lgkmcnt(0)
	s_setpc_b64 s[30:31]
.Lfunc_end1:
	.size	_ZN8migraphx4testlsIKNS_13basic_printerIZNS_4coutEvEUlT_E_EEEERS3_S7_RKNS0_10expressionINS0_14lhs_expressionIRiNS0_3nopEEEiNS0_5equalEEE, .Lfunc_end1-_ZN8migraphx4testlsIKNS_13basic_printerIZNS_4coutEvEUlT_E_EEEERS3_S7_RKNS0_10expressionINS0_14lhs_expressionIRiNS0_3nopEEEiNS0_5equalEEE
                                        ; -- End function
	.section	.AMDGPU.csdata,"",@progbits
; Function info:
; codeLenInByte = 11668
; NumSgprs: 42
; NumVgprs: 41
; ScratchSize: 16
; MemoryBound: 0
	.text
	.p2align	2                               ; -- Begin function _ZN8migraphx4test4failEv
	.type	_ZN8migraphx4test4failEv,@function
_ZN8migraphx4test4failEv:               ; @_ZN8migraphx4test4failEv
; %bb.0:
	s_waitcnt vmcnt(0) expcnt(0) lgkmcnt(0)
	v_mov_b32_e32 v0, 0
	global_load_dword v1, v0, s[8:9] offset:18
	global_load_ushort v2, v0, s[8:9] offset:22
	s_load_dwordx2 s[6:7], s[8:9], 0x0
	s_load_dword s10, s[8:9], 0x8
	s_waitcnt vmcnt(1)
	v_cmp_ne_u16_e32 vcc, 0, v1
	s_cmp_lg_u64 vcc, 0
	v_cmp_ne_u16_sdwa s[16:17], v1, v0 src0_sel:WORD_1 src1_sel:DWORD
	s_waitcnt lgkmcnt(0)
	s_addc_u32 s11, s6, 0
	s_cmp_lg_u64 s[16:17], 0
	s_waitcnt vmcnt(0)
	v_cmp_ne_u16_e64 s[4:5], 0, v2
	s_addc_u32 s15, s7, 0
	s_cmp_lg_u64 s[4:5], 0
	s_mul_i32 s11, s15, s11
	s_addc_u32 s4, s10, 0
	s_mul_i32 s11, s11, s4
	s_cmp_lg_u32 s11, 1
	s_cbranch_scc1 .LBB2_3
; %bb.1:
	s_cmp_lt_u32 s14, s10
	s_cselect_b32 s4, 16, 22
	s_add_u32 s4, s8, s4
	s_addc_u32 s5, s9, 0
	s_cmp_lt_u32 s13, s7
	s_cselect_b32 s7, 14, 20
	s_add_u32 s10, s8, s7
	s_addc_u32 s11, s9, 0
	s_cmp_lt_u32 s12, s6
	global_load_ushort v1, v0, s[4:5]
	global_load_ushort v2, v0, s[10:11]
	s_cselect_b32 s4, 12, 18
	s_add_u32 s4, s8, s4
	s_addc_u32 s5, s9, 0
	global_load_ushort v0, v0, s[4:5]
	s_waitcnt vmcnt(1)
	v_mul_lo_u32 v1, v2, v1
	s_waitcnt vmcnt(0)
	v_mul_lo_u32 v0, v1, v0
	v_cmp_lt_u32_e32 vcc, 64, v0
	s_cbranch_vccnz .LBB2_3
; %bb.2:
	s_endpgm
.LBB2_3:
	s_trap 2
.Lfunc_end2:
	.size	_ZN8migraphx4test4failEv, .Lfunc_end2-_ZN8migraphx4test4failEv
                                        ; -- End function
	.section	.AMDGPU.csdata,"",@progbits
; Function info:
; codeLenInByte = 224
; NumSgprs: 22
; NumVgprs: 3
; ScratchSize: 0
; MemoryBound: 0
	.text
	.p2align	2                               ; -- Begin function _ZN8migraphx4test12test_manager6failedINS0_10expressionINS0_14lhs_expressionIRiNS0_3nopEEEiNS0_5equalEEEPFvvEEEvRKT_PKcSG_SG_iT0_
	.type	_ZN8migraphx4test12test_manager6failedINS0_10expressionINS0_14lhs_expressionIRiNS0_3nopEEEiNS0_5equalEEEPFvvEEEvRKT_PKcSG_SG_iT0_,@function
_ZN8migraphx4test12test_manager6failedINS0_10expressionINS0_14lhs_expressionIRiNS0_3nopEEEiNS0_5equalEEEPFvvEEEvRKT_PKcSG_SG_iT0_: ; @_ZN8migraphx4test12test_manager6failedINS0_10expressionINS0_14lhs_expressionIRiNS0_3nopEEEiNS0_5equalEEEPFvvEEEvRKT_PKcSG_SG_iT0_
; %bb.0:
	s_waitcnt vmcnt(0) expcnt(0) lgkmcnt(0)
	s_mov_b32 s4, s33
	s_mov_b32 s33, s32
	s_or_saveexec_b64 s[6:7], -1
	buffer_store_dword v41, off, s[0:3], s33 ; 4-byte Folded Spill
	s_mov_b64 exec, s[6:7]
	v_writelane_b32 v41, s4, 2
	v_writelane_b32 v41, s30, 0
	s_addk_i32 s32, 0x400
	v_writelane_b32 v41, s31, 1
	v_mov_b32_e32 v37, v3
	v_mov_b32_e32 v36, v2
	;; [unrolled: 1-line block ×4, first 2 shown]
	flat_load_dwordx3 v[0:2], v[36:37]
	s_waitcnt vmcnt(0) lgkmcnt(0)
	flat_load_dword v0, v[0:1]
	s_waitcnt vmcnt(0) lgkmcnt(0)
	v_cmp_ne_u32_e32 vcc, v0, v2
	s_and_saveexec_b64 s[40:41], vcc
	s_cbranch_execz .LBB3_1724
; %bb.1:
	v_and_b32_e32 v0, 0x3ff, v31
	v_cmp_eq_u32_e32 vcc, 0, v0
	s_and_saveexec_b64 s[42:43], vcc
	s_cbranch_execz .LBB3_1723
; %bb.2:
	s_load_dwordx2 s[44:45], s[8:9], 0x50
	v_mbcnt_lo_u32_b32 v0, -1, 0
	v_mbcnt_hi_u32_b32 v51, -1, v0
	v_readfirstlane_b32 s4, v51
	v_mov_b32_e32 v9, 0
	v_mov_b32_e32 v10, 0
	v_cmp_eq_u32_e64 s[4:5], s4, v51
	s_and_saveexec_b64 s[6:7], s[4:5]
	s_cbranch_execz .LBB3_8
; %bb.3:
	v_mov_b32_e32 v0, 0
	s_waitcnt lgkmcnt(0)
	global_load_dwordx2 v[11:12], v0, s[44:45] offset:24 glc
	s_waitcnt vmcnt(0)
	buffer_wbinvl1_vol
	global_load_dwordx2 v[1:2], v0, s[44:45] offset:40
	global_load_dwordx2 v[7:8], v0, s[44:45]
	s_waitcnt vmcnt(1)
	v_and_b32_e32 v1, v1, v11
	v_and_b32_e32 v2, v2, v12
	v_mul_lo_u32 v2, v2, 24
	v_mul_hi_u32 v3, v1, 24
	v_mul_lo_u32 v1, v1, 24
	v_add_u32_e32 v2, v3, v2
	s_waitcnt vmcnt(0)
	v_add_co_u32_e32 v1, vcc, v7, v1
	v_addc_co_u32_e32 v2, vcc, v8, v2, vcc
	global_load_dwordx2 v[9:10], v[1:2], off glc
	s_waitcnt vmcnt(0)
	global_atomic_cmpswap_x2 v[9:10], v0, v[9:12], s[44:45] offset:24 glc
	s_waitcnt vmcnt(0)
	buffer_wbinvl1_vol
	v_cmp_ne_u64_e32 vcc, v[9:10], v[11:12]
	s_and_saveexec_b64 s[10:11], vcc
	s_cbranch_execz .LBB3_7
; %bb.4:
	s_mov_b64 s[16:17], 0
.LBB3_5:                                ; =>This Inner Loop Header: Depth=1
	s_sleep 1
	global_load_dwordx2 v[1:2], v0, s[44:45] offset:40
	global_load_dwordx2 v[7:8], v0, s[44:45]
	v_mov_b32_e32 v12, v10
	v_mov_b32_e32 v11, v9
	s_waitcnt vmcnt(1)
	v_and_b32_e32 v1, v1, v11
	s_waitcnt vmcnt(0)
	v_mad_u64_u32 v[7:8], s[18:19], v1, 24, v[7:8]
	v_and_b32_e32 v2, v2, v12
	v_mov_b32_e32 v1, v8
	v_mad_u64_u32 v[1:2], s[18:19], v2, 24, v[1:2]
	v_mov_b32_e32 v8, v1
	global_load_dwordx2 v[9:10], v[7:8], off glc
	s_waitcnt vmcnt(0)
	global_atomic_cmpswap_x2 v[9:10], v0, v[9:12], s[44:45] offset:24 glc
	s_waitcnt vmcnt(0)
	buffer_wbinvl1_vol
	v_cmp_eq_u64_e32 vcc, v[9:10], v[11:12]
	s_or_b64 s[16:17], vcc, s[16:17]
	s_andn2_b64 exec, exec, s[16:17]
	s_cbranch_execnz .LBB3_5
; %bb.6:
	s_or_b64 exec, exec, s[16:17]
.LBB3_7:
	s_or_b64 exec, exec, s[10:11]
.LBB3_8:
	s_or_b64 exec, exec, s[6:7]
	v_mov_b32_e32 v8, 0
	s_waitcnt lgkmcnt(0)
	global_load_dwordx2 v[11:12], v8, s[44:45] offset:40
	global_load_dwordx4 v[0:3], v8, s[44:45]
	v_readfirstlane_b32 s6, v9
	v_readfirstlane_b32 s7, v10
	s_mov_b64 s[10:11], exec
	s_waitcnt vmcnt(1)
	v_readfirstlane_b32 s16, v11
	v_readfirstlane_b32 s17, v12
	s_and_b64 s[16:17], s[6:7], s[16:17]
	s_mul_i32 s15, s17, 24
	s_mul_hi_u32 s18, s16, 24
	s_mul_i32 s19, s16, 24
	s_add_i32 s15, s18, s15
	v_mov_b32_e32 v7, s15
	s_waitcnt vmcnt(0)
	v_add_co_u32_e32 v11, vcc, s19, v0
	v_addc_co_u32_e32 v12, vcc, v1, v7, vcc
	s_and_saveexec_b64 s[18:19], s[4:5]
	s_cbranch_execz .LBB3_10
; %bb.9:
	v_mov_b32_e32 v14, s11
	v_mov_b32_e32 v13, s10
	;; [unrolled: 1-line block ×4, first 2 shown]
	global_store_dwordx4 v[11:12], v[13:16], off offset:8
.LBB3_10:
	s_or_b64 exec, exec, s[18:19]
	s_lshl_b64 s[10:11], s[16:17], 12
	v_mov_b32_e32 v7, s11
	v_add_co_u32_e32 v2, vcc, s10, v2
	v_addc_co_u32_e32 v3, vcc, v3, v7, vcc
	s_mov_b32 s16, 0
	v_lshlrev_b32_e32 v50, 6, v51
	v_mov_b32_e32 v7, 33
	v_mov_b32_e32 v9, v8
	;; [unrolled: 1-line block ×3, first 2 shown]
	v_readfirstlane_b32 s10, v2
	v_readfirstlane_b32 s11, v3
	v_add_co_u32_e32 v13, vcc, v2, v50
	s_mov_b32 s17, s16
	s_mov_b32 s18, s16
	;; [unrolled: 1-line block ×3, first 2 shown]
	s_nop 0
	global_store_dwordx4 v50, v[7:10], s[10:11]
	v_addc_co_u32_e32 v14, vcc, 0, v3, vcc
	v_mov_b32_e32 v7, s16
	v_mov_b32_e32 v8, s17
	;; [unrolled: 1-line block ×4, first 2 shown]
	global_store_dwordx4 v50, v[7:10], s[10:11] offset:16
	global_store_dwordx4 v50, v[7:10], s[10:11] offset:32
	;; [unrolled: 1-line block ×3, first 2 shown]
	s_and_saveexec_b64 s[10:11], s[4:5]
	s_cbranch_execz .LBB3_18
; %bb.11:
	v_mov_b32_e32 v9, 0
	global_load_dwordx2 v[17:18], v9, s[44:45] offset:32 glc
	global_load_dwordx2 v[2:3], v9, s[44:45] offset:40
	v_mov_b32_e32 v15, s6
	v_mov_b32_e32 v16, s7
	s_waitcnt vmcnt(0)
	v_and_b32_e32 v2, s6, v2
	v_and_b32_e32 v3, s7, v3
	v_mul_lo_u32 v3, v3, 24
	v_mul_hi_u32 v7, v2, 24
	v_mul_lo_u32 v2, v2, 24
	v_add_u32_e32 v3, v7, v3
	v_add_co_u32_e32 v7, vcc, v0, v2
	v_addc_co_u32_e32 v8, vcc, v1, v3, vcc
	global_store_dwordx2 v[7:8], v[17:18], off
	s_waitcnt vmcnt(0)
	global_atomic_cmpswap_x2 v[2:3], v9, v[15:18], s[44:45] offset:32 glc
	s_waitcnt vmcnt(0)
	v_cmp_ne_u64_e32 vcc, v[2:3], v[17:18]
	s_and_saveexec_b64 s[16:17], vcc
	s_cbranch_execz .LBB3_14
; %bb.12:
	s_mov_b64 s[18:19], 0
.LBB3_13:                               ; =>This Inner Loop Header: Depth=1
	s_sleep 1
	global_store_dwordx2 v[7:8], v[2:3], off
	v_mov_b32_e32 v0, s6
	v_mov_b32_e32 v1, s7
	s_waitcnt vmcnt(0)
	global_atomic_cmpswap_x2 v[0:1], v9, v[0:3], s[44:45] offset:32 glc
	s_waitcnt vmcnt(0)
	v_cmp_eq_u64_e32 vcc, v[0:1], v[2:3]
	v_mov_b32_e32 v3, v1
	s_or_b64 s[18:19], vcc, s[18:19]
	v_mov_b32_e32 v2, v0
	s_andn2_b64 exec, exec, s[18:19]
	s_cbranch_execnz .LBB3_13
.LBB3_14:
	s_or_b64 exec, exec, s[16:17]
	v_mov_b32_e32 v3, 0
	global_load_dwordx2 v[0:1], v3, s[44:45] offset:16
	s_mov_b64 s[16:17], exec
	v_mbcnt_lo_u32_b32 v2, s16, 0
	v_mbcnt_hi_u32_b32 v2, s17, v2
	v_cmp_eq_u32_e32 vcc, 0, v2
	s_and_saveexec_b64 s[18:19], vcc
	s_cbranch_execz .LBB3_16
; %bb.15:
	s_bcnt1_i32_b64 s15, s[16:17]
	v_mov_b32_e32 v2, s15
	s_waitcnt vmcnt(0)
	global_atomic_add_x2 v[0:1], v[2:3], off offset:8
.LBB3_16:
	s_or_b64 exec, exec, s[18:19]
	s_waitcnt vmcnt(0)
	global_load_dwordx2 v[2:3], v[0:1], off offset:16
	s_waitcnt vmcnt(0)
	v_cmp_eq_u64_e32 vcc, 0, v[2:3]
	s_cbranch_vccnz .LBB3_18
; %bb.17:
	global_load_dword v0, v[0:1], off offset:24
	v_mov_b32_e32 v1, 0
	s_waitcnt vmcnt(0)
	global_store_dwordx2 v[2:3], v[0:1], off
	v_and_b32_e32 v0, 0xffffff, v0
	v_readfirstlane_b32 m0, v0
	s_sendmsg sendmsg(MSG_INTERRUPT)
.LBB3_18:
	s_or_b64 exec, exec, s[10:11]
	s_branch .LBB3_22
.LBB3_19:                               ;   in Loop: Header=BB3_22 Depth=1
	s_or_b64 exec, exec, s[10:11]
	v_readfirstlane_b32 s10, v0
	s_cmp_eq_u32 s10, 0
	s_cbranch_scc1 .LBB3_21
; %bb.20:                               ;   in Loop: Header=BB3_22 Depth=1
	s_sleep 1
	s_cbranch_execnz .LBB3_22
	s_branch .LBB3_24
.LBB3_21:
	s_branch .LBB3_24
.LBB3_22:                               ; =>This Inner Loop Header: Depth=1
	v_mov_b32_e32 v0, 1
	s_and_saveexec_b64 s[10:11], s[4:5]
	s_cbranch_execz .LBB3_19
; %bb.23:                               ;   in Loop: Header=BB3_22 Depth=1
	global_load_dword v0, v[11:12], off offset:20 glc
	s_waitcnt vmcnt(0)
	buffer_wbinvl1_vol
	v_and_b32_e32 v0, 1, v0
	s_branch .LBB3_19
.LBB3_24:
	global_load_dwordx2 v[7:8], v[13:14], off
	s_and_saveexec_b64 s[10:11], s[4:5]
	s_cbranch_execz .LBB3_27
; %bb.25:
	v_mov_b32_e32 v11, 0
	global_load_dwordx2 v[2:3], v11, s[44:45] offset:40
	global_load_dwordx2 v[12:13], v11, s[44:45] offset:24 glc
	global_load_dwordx2 v[9:10], v11, s[44:45]
	v_mov_b32_e32 v1, s7
	s_mov_b64 s[4:5], 0
	s_waitcnt vmcnt(2)
	v_add_co_u32_e32 v14, vcc, 1, v2
	v_addc_co_u32_e32 v15, vcc, 0, v3, vcc
	v_add_co_u32_e32 v0, vcc, s6, v14
	v_addc_co_u32_e32 v1, vcc, v15, v1, vcc
	v_cmp_eq_u64_e32 vcc, 0, v[0:1]
	v_cndmask_b32_e32 v1, v1, v15, vcc
	v_cndmask_b32_e32 v0, v0, v14, vcc
	v_and_b32_e32 v3, v1, v3
	v_and_b32_e32 v2, v0, v2
	v_mul_lo_u32 v3, v3, 24
	v_mul_hi_u32 v14, v2, 24
	v_mul_lo_u32 v15, v2, 24
	s_waitcnt vmcnt(1)
	v_mov_b32_e32 v2, v12
	v_add_u32_e32 v3, v14, v3
	s_waitcnt vmcnt(0)
	v_add_co_u32_e32 v9, vcc, v9, v15
	v_addc_co_u32_e32 v10, vcc, v10, v3, vcc
	global_store_dwordx2 v[9:10], v[12:13], off
	v_mov_b32_e32 v3, v13
	s_waitcnt vmcnt(0)
	global_atomic_cmpswap_x2 v[2:3], v11, v[0:3], s[44:45] offset:24 glc
	s_waitcnt vmcnt(0)
	v_cmp_ne_u64_e32 vcc, v[2:3], v[12:13]
	s_and_b64 exec, exec, vcc
	s_cbranch_execz .LBB3_27
.LBB3_26:                               ; =>This Inner Loop Header: Depth=1
	s_sleep 1
	global_store_dwordx2 v[9:10], v[2:3], off
	s_waitcnt vmcnt(0)
	global_atomic_cmpswap_x2 v[12:13], v11, v[0:3], s[44:45] offset:24 glc
	s_waitcnt vmcnt(0)
	v_cmp_eq_u64_e32 vcc, v[12:13], v[2:3]
	v_mov_b32_e32 v2, v12
	s_or_b64 s[4:5], vcc, s[4:5]
	v_mov_b32_e32 v3, v13
	s_andn2_b64 exec, exec, s[4:5]
	s_cbranch_execnz .LBB3_26
.LBB3_27:
	s_or_b64 exec, exec, s[10:11]
	s_getpc_b64 s[10:11]
	s_add_u32 s10, s10, .str.5@rel32@lo+4
	s_addc_u32 s11, s11, .str.5@rel32@hi+12
	s_cmp_lg_u64 s[10:11], 0
	s_cselect_b64 s[6:7], -1, 0
	s_and_b64 vcc, exec, s[6:7]
	s_cbranch_vccz .LBB3_112
; %bb.28:
	s_waitcnt vmcnt(0)
	v_and_b32_e32 v32, 2, v7
	v_mov_b32_e32 v29, 0
	v_and_b32_e32 v0, -3, v7
	v_mov_b32_e32 v1, v8
	s_mov_b64 s[16:17], 3
	v_mov_b32_e32 v11, 2
	v_mov_b32_e32 v12, 1
	s_branch .LBB3_30
.LBB3_29:                               ;   in Loop: Header=BB3_30 Depth=1
	s_or_b64 exec, exec, s[22:23]
	s_sub_u32 s16, s16, s18
	s_subb_u32 s17, s17, s19
	s_add_u32 s10, s10, s18
	s_addc_u32 s11, s11, s19
	s_cmp_lg_u64 s[16:17], 0
	s_cbranch_scc0 .LBB3_111
.LBB3_30:                               ; =>This Loop Header: Depth=1
                                        ;     Child Loop BB3_33 Depth 2
                                        ;     Child Loop BB3_40 Depth 2
	;; [unrolled: 1-line block ×11, first 2 shown]
	v_cmp_lt_u64_e64 s[4:5], s[16:17], 56
	v_cmp_gt_u64_e64 s[20:21], s[16:17], 7
	s_and_b64 s[4:5], s[4:5], exec
	s_cselect_b32 s19, s17, 0
	s_cselect_b32 s18, s16, 56
	s_and_b64 vcc, exec, s[20:21]
	s_cbranch_vccnz .LBB3_35
; %bb.31:                               ;   in Loop: Header=BB3_30 Depth=1
	s_waitcnt vmcnt(0)
	v_mov_b32_e32 v2, 0
	s_cmp_eq_u64 s[16:17], 0
	v_mov_b32_e32 v3, 0
	s_mov_b64 s[4:5], 0
	s_cbranch_scc1 .LBB3_34
; %bb.32:                               ;   in Loop: Header=BB3_30 Depth=1
	v_mov_b32_e32 v2, 0
	s_lshl_b64 s[20:21], s[18:19], 3
	s_mov_b64 s[22:23], 0
	v_mov_b32_e32 v3, 0
	s_mov_b64 s[24:25], s[10:11]
.LBB3_33:                               ;   Parent Loop BB3_30 Depth=1
                                        ; =>  This Inner Loop Header: Depth=2
	global_load_ubyte v9, v29, s[24:25]
	s_waitcnt vmcnt(0)
	v_and_b32_e32 v28, 0xffff, v9
	v_lshlrev_b64 v[9:10], s22, v[28:29]
	s_add_u32 s22, s22, 8
	s_addc_u32 s23, s23, 0
	s_add_u32 s24, s24, 1
	s_addc_u32 s25, s25, 0
	v_or_b32_e32 v2, v9, v2
	s_cmp_lg_u32 s20, s22
	v_or_b32_e32 v3, v10, v3
	s_cbranch_scc1 .LBB3_33
.LBB3_34:                               ;   in Loop: Header=BB3_30 Depth=1
	s_mov_b32 s15, 0
	s_andn2_b64 vcc, exec, s[4:5]
	s_mov_b64 s[4:5], s[10:11]
	s_cbranch_vccz .LBB3_36
	s_branch .LBB3_37
.LBB3_35:                               ;   in Loop: Header=BB3_30 Depth=1
                                        ; implicit-def: $vgpr2_vgpr3
                                        ; implicit-def: $sgpr15
	s_mov_b64 s[4:5], s[10:11]
.LBB3_36:                               ;   in Loop: Header=BB3_30 Depth=1
	global_load_dwordx2 v[2:3], v29, s[10:11]
	s_add_i32 s15, s18, -8
	s_add_u32 s4, s10, 8
	s_addc_u32 s5, s11, 0
.LBB3_37:                               ;   in Loop: Header=BB3_30 Depth=1
	s_cmp_gt_u32 s15, 7
	s_cbranch_scc1 .LBB3_41
; %bb.38:                               ;   in Loop: Header=BB3_30 Depth=1
	s_cmp_eq_u32 s15, 0
	s_cbranch_scc1 .LBB3_42
; %bb.39:                               ;   in Loop: Header=BB3_30 Depth=1
	v_mov_b32_e32 v13, 0
	s_mov_b64 s[20:21], 0
	v_mov_b32_e32 v14, 0
	s_mov_b64 s[22:23], 0
.LBB3_40:                               ;   Parent Loop BB3_30 Depth=1
                                        ; =>  This Inner Loop Header: Depth=2
	s_add_u32 s24, s4, s22
	s_addc_u32 s25, s5, s23
	global_load_ubyte v9, v29, s[24:25]
	s_add_u32 s22, s22, 1
	s_addc_u32 s23, s23, 0
	s_waitcnt vmcnt(0)
	v_and_b32_e32 v28, 0xffff, v9
	v_lshlrev_b64 v[9:10], s20, v[28:29]
	s_add_u32 s20, s20, 8
	s_addc_u32 s21, s21, 0
	v_or_b32_e32 v13, v9, v13
	s_cmp_lg_u32 s15, s22
	v_or_b32_e32 v14, v10, v14
	s_cbranch_scc1 .LBB3_40
	s_branch .LBB3_43
.LBB3_41:                               ;   in Loop: Header=BB3_30 Depth=1
                                        ; implicit-def: $vgpr13_vgpr14
                                        ; implicit-def: $sgpr24
	s_branch .LBB3_44
.LBB3_42:                               ;   in Loop: Header=BB3_30 Depth=1
	v_mov_b32_e32 v13, 0
	v_mov_b32_e32 v14, 0
.LBB3_43:                               ;   in Loop: Header=BB3_30 Depth=1
	s_mov_b32 s24, 0
	s_cbranch_execnz .LBB3_45
.LBB3_44:                               ;   in Loop: Header=BB3_30 Depth=1
	global_load_dwordx2 v[13:14], v29, s[4:5]
	s_add_i32 s24, s15, -8
	s_add_u32 s4, s4, 8
	s_addc_u32 s5, s5, 0
.LBB3_45:                               ;   in Loop: Header=BB3_30 Depth=1
	s_cmp_gt_u32 s24, 7
	s_cbranch_scc1 .LBB3_49
; %bb.46:                               ;   in Loop: Header=BB3_30 Depth=1
	s_cmp_eq_u32 s24, 0
	s_cbranch_scc1 .LBB3_50
; %bb.47:                               ;   in Loop: Header=BB3_30 Depth=1
	v_mov_b32_e32 v15, 0
	s_mov_b64 s[20:21], 0
	v_mov_b32_e32 v16, 0
	s_mov_b64 s[22:23], 0
.LBB3_48:                               ;   Parent Loop BB3_30 Depth=1
                                        ; =>  This Inner Loop Header: Depth=2
	s_add_u32 s26, s4, s22
	s_addc_u32 s27, s5, s23
	global_load_ubyte v9, v29, s[26:27]
	s_add_u32 s22, s22, 1
	s_addc_u32 s23, s23, 0
	s_waitcnt vmcnt(0)
	v_and_b32_e32 v28, 0xffff, v9
	v_lshlrev_b64 v[9:10], s20, v[28:29]
	s_add_u32 s20, s20, 8
	s_addc_u32 s21, s21, 0
	v_or_b32_e32 v15, v9, v15
	s_cmp_lg_u32 s24, s22
	v_or_b32_e32 v16, v10, v16
	s_cbranch_scc1 .LBB3_48
	s_branch .LBB3_51
.LBB3_49:                               ;   in Loop: Header=BB3_30 Depth=1
                                        ; implicit-def: $sgpr15
	s_branch .LBB3_52
.LBB3_50:                               ;   in Loop: Header=BB3_30 Depth=1
	v_mov_b32_e32 v15, 0
	v_mov_b32_e32 v16, 0
.LBB3_51:                               ;   in Loop: Header=BB3_30 Depth=1
	s_mov_b32 s15, 0
	s_cbranch_execnz .LBB3_53
.LBB3_52:                               ;   in Loop: Header=BB3_30 Depth=1
	global_load_dwordx2 v[15:16], v29, s[4:5]
	s_add_i32 s15, s24, -8
	s_add_u32 s4, s4, 8
	s_addc_u32 s5, s5, 0
.LBB3_53:                               ;   in Loop: Header=BB3_30 Depth=1
	s_cmp_gt_u32 s15, 7
	s_cbranch_scc1 .LBB3_57
; %bb.54:                               ;   in Loop: Header=BB3_30 Depth=1
	s_cmp_eq_u32 s15, 0
	s_cbranch_scc1 .LBB3_58
; %bb.55:                               ;   in Loop: Header=BB3_30 Depth=1
	v_mov_b32_e32 v17, 0
	s_mov_b64 s[20:21], 0
	v_mov_b32_e32 v18, 0
	s_mov_b64 s[22:23], 0
.LBB3_56:                               ;   Parent Loop BB3_30 Depth=1
                                        ; =>  This Inner Loop Header: Depth=2
	s_add_u32 s24, s4, s22
	s_addc_u32 s25, s5, s23
	global_load_ubyte v9, v29, s[24:25]
	s_add_u32 s22, s22, 1
	s_addc_u32 s23, s23, 0
	s_waitcnt vmcnt(0)
	v_and_b32_e32 v28, 0xffff, v9
	v_lshlrev_b64 v[9:10], s20, v[28:29]
	s_add_u32 s20, s20, 8
	s_addc_u32 s21, s21, 0
	v_or_b32_e32 v17, v9, v17
	s_cmp_lg_u32 s15, s22
	v_or_b32_e32 v18, v10, v18
	s_cbranch_scc1 .LBB3_56
	s_branch .LBB3_59
.LBB3_57:                               ;   in Loop: Header=BB3_30 Depth=1
                                        ; implicit-def: $vgpr17_vgpr18
                                        ; implicit-def: $sgpr24
	s_branch .LBB3_60
.LBB3_58:                               ;   in Loop: Header=BB3_30 Depth=1
	v_mov_b32_e32 v17, 0
	v_mov_b32_e32 v18, 0
.LBB3_59:                               ;   in Loop: Header=BB3_30 Depth=1
	s_mov_b32 s24, 0
	s_cbranch_execnz .LBB3_61
.LBB3_60:                               ;   in Loop: Header=BB3_30 Depth=1
	global_load_dwordx2 v[17:18], v29, s[4:5]
	s_add_i32 s24, s15, -8
	s_add_u32 s4, s4, 8
	s_addc_u32 s5, s5, 0
.LBB3_61:                               ;   in Loop: Header=BB3_30 Depth=1
	s_cmp_gt_u32 s24, 7
	s_cbranch_scc1 .LBB3_65
; %bb.62:                               ;   in Loop: Header=BB3_30 Depth=1
	s_cmp_eq_u32 s24, 0
	s_cbranch_scc1 .LBB3_66
; %bb.63:                               ;   in Loop: Header=BB3_30 Depth=1
	v_mov_b32_e32 v19, 0
	s_mov_b64 s[20:21], 0
	v_mov_b32_e32 v20, 0
	s_mov_b64 s[22:23], 0
.LBB3_64:                               ;   Parent Loop BB3_30 Depth=1
                                        ; =>  This Inner Loop Header: Depth=2
	s_add_u32 s26, s4, s22
	s_addc_u32 s27, s5, s23
	global_load_ubyte v9, v29, s[26:27]
	s_add_u32 s22, s22, 1
	s_addc_u32 s23, s23, 0
	s_waitcnt vmcnt(0)
	v_and_b32_e32 v28, 0xffff, v9
	v_lshlrev_b64 v[9:10], s20, v[28:29]
	s_add_u32 s20, s20, 8
	s_addc_u32 s21, s21, 0
	v_or_b32_e32 v19, v9, v19
	s_cmp_lg_u32 s24, s22
	v_or_b32_e32 v20, v10, v20
	s_cbranch_scc1 .LBB3_64
	s_branch .LBB3_67
.LBB3_65:                               ;   in Loop: Header=BB3_30 Depth=1
                                        ; implicit-def: $sgpr15
	s_branch .LBB3_68
.LBB3_66:                               ;   in Loop: Header=BB3_30 Depth=1
	v_mov_b32_e32 v19, 0
	v_mov_b32_e32 v20, 0
.LBB3_67:                               ;   in Loop: Header=BB3_30 Depth=1
	s_mov_b32 s15, 0
	s_cbranch_execnz .LBB3_69
.LBB3_68:                               ;   in Loop: Header=BB3_30 Depth=1
	global_load_dwordx2 v[19:20], v29, s[4:5]
	s_add_i32 s15, s24, -8
	s_add_u32 s4, s4, 8
	s_addc_u32 s5, s5, 0
.LBB3_69:                               ;   in Loop: Header=BB3_30 Depth=1
	s_cmp_gt_u32 s15, 7
	s_cbranch_scc1 .LBB3_73
; %bb.70:                               ;   in Loop: Header=BB3_30 Depth=1
	s_cmp_eq_u32 s15, 0
	s_cbranch_scc1 .LBB3_74
; %bb.71:                               ;   in Loop: Header=BB3_30 Depth=1
	v_mov_b32_e32 v21, 0
	s_mov_b64 s[20:21], 0
	v_mov_b32_e32 v22, 0
	s_mov_b64 s[22:23], 0
.LBB3_72:                               ;   Parent Loop BB3_30 Depth=1
                                        ; =>  This Inner Loop Header: Depth=2
	s_add_u32 s24, s4, s22
	s_addc_u32 s25, s5, s23
	global_load_ubyte v9, v29, s[24:25]
	s_add_u32 s22, s22, 1
	s_addc_u32 s23, s23, 0
	s_waitcnt vmcnt(0)
	v_and_b32_e32 v28, 0xffff, v9
	v_lshlrev_b64 v[9:10], s20, v[28:29]
	s_add_u32 s20, s20, 8
	s_addc_u32 s21, s21, 0
	v_or_b32_e32 v21, v9, v21
	s_cmp_lg_u32 s15, s22
	v_or_b32_e32 v22, v10, v22
	s_cbranch_scc1 .LBB3_72
	s_branch .LBB3_75
.LBB3_73:                               ;   in Loop: Header=BB3_30 Depth=1
                                        ; implicit-def: $vgpr21_vgpr22
                                        ; implicit-def: $sgpr24
	s_branch .LBB3_76
.LBB3_74:                               ;   in Loop: Header=BB3_30 Depth=1
	v_mov_b32_e32 v21, 0
	v_mov_b32_e32 v22, 0
.LBB3_75:                               ;   in Loop: Header=BB3_30 Depth=1
	s_mov_b32 s24, 0
	s_cbranch_execnz .LBB3_77
.LBB3_76:                               ;   in Loop: Header=BB3_30 Depth=1
	global_load_dwordx2 v[21:22], v29, s[4:5]
	s_add_i32 s24, s15, -8
	s_add_u32 s4, s4, 8
	s_addc_u32 s5, s5, 0
.LBB3_77:                               ;   in Loop: Header=BB3_30 Depth=1
	s_cmp_gt_u32 s24, 7
	s_cbranch_scc1 .LBB3_81
; %bb.78:                               ;   in Loop: Header=BB3_30 Depth=1
	s_cmp_eq_u32 s24, 0
	s_cbranch_scc1 .LBB3_82
; %bb.79:                               ;   in Loop: Header=BB3_30 Depth=1
	v_mov_b32_e32 v23, 0
	s_mov_b64 s[20:21], 0
	v_mov_b32_e32 v24, 0
	s_mov_b64 s[22:23], s[4:5]
.LBB3_80:                               ;   Parent Loop BB3_30 Depth=1
                                        ; =>  This Inner Loop Header: Depth=2
	global_load_ubyte v9, v29, s[22:23]
	s_add_i32 s24, s24, -1
	s_waitcnt vmcnt(0)
	v_and_b32_e32 v28, 0xffff, v9
	v_lshlrev_b64 v[9:10], s20, v[28:29]
	s_add_u32 s20, s20, 8
	s_addc_u32 s21, s21, 0
	s_add_u32 s22, s22, 1
	s_addc_u32 s23, s23, 0
	v_or_b32_e32 v23, v9, v23
	s_cmp_lg_u32 s24, 0
	v_or_b32_e32 v24, v10, v24
	s_cbranch_scc1 .LBB3_80
	s_branch .LBB3_83
.LBB3_81:                               ;   in Loop: Header=BB3_30 Depth=1
	s_branch .LBB3_84
.LBB3_82:                               ;   in Loop: Header=BB3_30 Depth=1
	v_mov_b32_e32 v23, 0
	v_mov_b32_e32 v24, 0
.LBB3_83:                               ;   in Loop: Header=BB3_30 Depth=1
	s_cbranch_execnz .LBB3_85
.LBB3_84:                               ;   in Loop: Header=BB3_30 Depth=1
	global_load_dwordx2 v[23:24], v29, s[4:5]
.LBB3_85:                               ;   in Loop: Header=BB3_30 Depth=1
	v_readfirstlane_b32 s4, v51
	v_mov_b32_e32 v9, 0
	v_mov_b32_e32 v10, 0
	v_cmp_eq_u32_e64 s[4:5], s4, v51
	s_and_saveexec_b64 s[20:21], s[4:5]
	s_cbranch_execz .LBB3_91
; %bb.86:                               ;   in Loop: Header=BB3_30 Depth=1
	global_load_dwordx2 v[27:28], v29, s[44:45] offset:24 glc
	s_waitcnt vmcnt(0)
	buffer_wbinvl1_vol
	global_load_dwordx2 v[9:10], v29, s[44:45] offset:40
	global_load_dwordx2 v[25:26], v29, s[44:45]
	s_waitcnt vmcnt(1)
	v_and_b32_e32 v9, v9, v27
	v_and_b32_e32 v10, v10, v28
	v_mul_lo_u32 v10, v10, 24
	v_mul_hi_u32 v30, v9, 24
	v_mul_lo_u32 v9, v9, 24
	v_add_u32_e32 v10, v30, v10
	s_waitcnt vmcnt(0)
	v_add_co_u32_e32 v9, vcc, v25, v9
	v_addc_co_u32_e32 v10, vcc, v26, v10, vcc
	global_load_dwordx2 v[25:26], v[9:10], off glc
	s_waitcnt vmcnt(0)
	global_atomic_cmpswap_x2 v[9:10], v29, v[25:28], s[44:45] offset:24 glc
	s_waitcnt vmcnt(0)
	buffer_wbinvl1_vol
	v_cmp_ne_u64_e32 vcc, v[9:10], v[27:28]
	s_and_saveexec_b64 s[22:23], vcc
	s_cbranch_execz .LBB3_90
; %bb.87:                               ;   in Loop: Header=BB3_30 Depth=1
	s_mov_b64 s[24:25], 0
.LBB3_88:                               ;   Parent Loop BB3_30 Depth=1
                                        ; =>  This Inner Loop Header: Depth=2
	s_sleep 1
	global_load_dwordx2 v[25:26], v29, s[44:45] offset:40
	global_load_dwordx2 v[30:31], v29, s[44:45]
	v_mov_b32_e32 v28, v10
	v_mov_b32_e32 v27, v9
	s_waitcnt vmcnt(1)
	v_and_b32_e32 v9, v25, v27
	s_waitcnt vmcnt(0)
	v_mad_u64_u32 v[9:10], s[26:27], v9, 24, v[30:31]
	v_and_b32_e32 v25, v26, v28
	v_mad_u64_u32 v[25:26], s[26:27], v25, 24, v[10:11]
	v_mov_b32_e32 v10, v25
	global_load_dwordx2 v[25:26], v[9:10], off glc
	s_waitcnt vmcnt(0)
	global_atomic_cmpswap_x2 v[9:10], v29, v[25:28], s[44:45] offset:24 glc
	s_waitcnt vmcnt(0)
	buffer_wbinvl1_vol
	v_cmp_eq_u64_e32 vcc, v[9:10], v[27:28]
	s_or_b64 s[24:25], vcc, s[24:25]
	s_andn2_b64 exec, exec, s[24:25]
	s_cbranch_execnz .LBB3_88
; %bb.89:                               ;   in Loop: Header=BB3_30 Depth=1
	s_or_b64 exec, exec, s[24:25]
.LBB3_90:                               ;   in Loop: Header=BB3_30 Depth=1
	s_or_b64 exec, exec, s[22:23]
.LBB3_91:                               ;   in Loop: Header=BB3_30 Depth=1
	s_or_b64 exec, exec, s[20:21]
	global_load_dwordx2 v[30:31], v29, s[44:45] offset:40
	global_load_dwordx4 v[25:28], v29, s[44:45]
	v_readfirstlane_b32 s20, v9
	v_readfirstlane_b32 s21, v10
	s_mov_b64 s[22:23], exec
	s_waitcnt vmcnt(1)
	v_readfirstlane_b32 s24, v30
	v_readfirstlane_b32 s25, v31
	s_and_b64 s[24:25], s[20:21], s[24:25]
	s_mul_i32 s15, s25, 24
	s_mul_hi_u32 s26, s24, 24
	s_mul_i32 s27, s24, 24
	s_add_i32 s15, s26, s15
	v_mov_b32_e32 v9, s15
	s_waitcnt vmcnt(0)
	v_add_co_u32_e32 v30, vcc, s27, v25
	v_addc_co_u32_e32 v31, vcc, v26, v9, vcc
	s_and_saveexec_b64 s[26:27], s[4:5]
	s_cbranch_execz .LBB3_93
; %bb.92:                               ;   in Loop: Header=BB3_30 Depth=1
	v_mov_b32_e32 v9, s22
	v_mov_b32_e32 v10, s23
	global_store_dwordx4 v[30:31], v[9:12], off offset:8
.LBB3_93:                               ;   in Loop: Header=BB3_30 Depth=1
	s_or_b64 exec, exec, s[26:27]
	s_lshl_b64 s[22:23], s[24:25], 12
	v_mov_b32_e32 v9, s23
	v_add_co_u32_e32 v27, vcc, s22, v27
	v_addc_co_u32_e32 v33, vcc, v28, v9, vcc
	v_cmp_gt_u64_e64 vcc, s[16:17], 56
	v_or_b32_e32 v10, v0, v32
	s_lshl_b32 s15, s18, 2
	v_cndmask_b32_e32 v0, v10, v0, vcc
	s_add_i32 s15, s15, 28
	v_or_b32_e32 v9, 0, v1
	s_and_b32 s15, s15, 0x1e0
	v_and_b32_e32 v0, 0xffffff1f, v0
	v_cndmask_b32_e32 v1, v9, v1, vcc
	v_or_b32_e32 v0, s15, v0
	v_readfirstlane_b32 s22, v27
	v_readfirstlane_b32 s23, v33
	s_nop 4
	global_store_dwordx4 v50, v[0:3], s[22:23]
	global_store_dwordx4 v50, v[13:16], s[22:23] offset:16
	global_store_dwordx4 v50, v[17:20], s[22:23] offset:32
	;; [unrolled: 1-line block ×3, first 2 shown]
	s_and_saveexec_b64 s[22:23], s[4:5]
	s_cbranch_execz .LBB3_101
; %bb.94:                               ;   in Loop: Header=BB3_30 Depth=1
	global_load_dwordx2 v[15:16], v29, s[44:45] offset:32 glc
	global_load_dwordx2 v[0:1], v29, s[44:45] offset:40
	v_mov_b32_e32 v13, s20
	v_mov_b32_e32 v14, s21
	s_waitcnt vmcnt(0)
	v_readfirstlane_b32 s24, v0
	v_readfirstlane_b32 s25, v1
	s_and_b64 s[24:25], s[24:25], s[20:21]
	s_mul_i32 s15, s25, 24
	s_mul_hi_u32 s25, s24, 24
	s_mul_i32 s24, s24, 24
	s_add_i32 s15, s25, s15
	v_mov_b32_e32 v0, s15
	v_add_co_u32_e32 v9, vcc, s24, v25
	v_addc_co_u32_e32 v10, vcc, v26, v0, vcc
	global_store_dwordx2 v[9:10], v[15:16], off
	s_waitcnt vmcnt(0)
	global_atomic_cmpswap_x2 v[2:3], v29, v[13:16], s[44:45] offset:32 glc
	s_waitcnt vmcnt(0)
	v_cmp_ne_u64_e32 vcc, v[2:3], v[15:16]
	s_and_saveexec_b64 s[24:25], vcc
	s_cbranch_execz .LBB3_97
; %bb.95:                               ;   in Loop: Header=BB3_30 Depth=1
	s_mov_b64 s[26:27], 0
.LBB3_96:                               ;   Parent Loop BB3_30 Depth=1
                                        ; =>  This Inner Loop Header: Depth=2
	s_sleep 1
	global_store_dwordx2 v[9:10], v[2:3], off
	v_mov_b32_e32 v0, s20
	v_mov_b32_e32 v1, s21
	s_waitcnt vmcnt(0)
	global_atomic_cmpswap_x2 v[0:1], v29, v[0:3], s[44:45] offset:32 glc
	s_waitcnt vmcnt(0)
	v_cmp_eq_u64_e32 vcc, v[0:1], v[2:3]
	v_mov_b32_e32 v3, v1
	s_or_b64 s[26:27], vcc, s[26:27]
	v_mov_b32_e32 v2, v0
	s_andn2_b64 exec, exec, s[26:27]
	s_cbranch_execnz .LBB3_96
.LBB3_97:                               ;   in Loop: Header=BB3_30 Depth=1
	s_or_b64 exec, exec, s[24:25]
	global_load_dwordx2 v[0:1], v29, s[44:45] offset:16
	s_mov_b64 s[26:27], exec
	v_mbcnt_lo_u32_b32 v2, s26, 0
	v_mbcnt_hi_u32_b32 v2, s27, v2
	v_cmp_eq_u32_e32 vcc, 0, v2
	s_and_saveexec_b64 s[24:25], vcc
	s_cbranch_execz .LBB3_99
; %bb.98:                               ;   in Loop: Header=BB3_30 Depth=1
	s_bcnt1_i32_b64 s15, s[26:27]
	v_mov_b32_e32 v28, s15
	s_waitcnt vmcnt(0)
	global_atomic_add_x2 v[0:1], v[28:29], off offset:8
.LBB3_99:                               ;   in Loop: Header=BB3_30 Depth=1
	s_or_b64 exec, exec, s[24:25]
	s_waitcnt vmcnt(0)
	global_load_dwordx2 v[2:3], v[0:1], off offset:16
	s_waitcnt vmcnt(0)
	v_cmp_eq_u64_e32 vcc, 0, v[2:3]
	s_cbranch_vccnz .LBB3_101
; %bb.100:                              ;   in Loop: Header=BB3_30 Depth=1
	global_load_dword v28, v[0:1], off offset:24
	s_waitcnt vmcnt(0)
	v_and_b32_e32 v0, 0xffffff, v28
	v_readfirstlane_b32 m0, v0
	global_store_dwordx2 v[2:3], v[28:29], off
	s_sendmsg sendmsg(MSG_INTERRUPT)
.LBB3_101:                              ;   in Loop: Header=BB3_30 Depth=1
	s_or_b64 exec, exec, s[22:23]
	v_add_co_u32_e32 v0, vcc, v27, v50
	v_addc_co_u32_e32 v1, vcc, 0, v33, vcc
	s_branch .LBB3_105
.LBB3_102:                              ;   in Loop: Header=BB3_105 Depth=2
	s_or_b64 exec, exec, s[22:23]
	v_readfirstlane_b32 s15, v2
	s_cmp_eq_u32 s15, 0
	s_cbranch_scc1 .LBB3_104
; %bb.103:                              ;   in Loop: Header=BB3_105 Depth=2
	s_sleep 1
	s_cbranch_execnz .LBB3_105
	s_branch .LBB3_107
.LBB3_104:                              ;   in Loop: Header=BB3_30 Depth=1
	s_branch .LBB3_107
.LBB3_105:                              ;   Parent Loop BB3_30 Depth=1
                                        ; =>  This Inner Loop Header: Depth=2
	v_mov_b32_e32 v2, 1
	s_and_saveexec_b64 s[22:23], s[4:5]
	s_cbranch_execz .LBB3_102
; %bb.106:                              ;   in Loop: Header=BB3_105 Depth=2
	global_load_dword v2, v[30:31], off offset:20 glc
	s_waitcnt vmcnt(0)
	buffer_wbinvl1_vol
	v_and_b32_e32 v2, 1, v2
	s_branch .LBB3_102
.LBB3_107:                              ;   in Loop: Header=BB3_30 Depth=1
	global_load_dwordx4 v[0:3], v[0:1], off
	s_and_saveexec_b64 s[22:23], s[4:5]
	s_cbranch_execz .LBB3_29
; %bb.108:                              ;   in Loop: Header=BB3_30 Depth=1
	global_load_dwordx2 v[2:3], v29, s[44:45] offset:40
	global_load_dwordx2 v[9:10], v29, s[44:45] offset:24 glc
	global_load_dwordx2 v[16:17], v29, s[44:45]
	v_mov_b32_e32 v14, s21
	s_waitcnt vmcnt(2)
	v_add_co_u32_e32 v15, vcc, 1, v2
	v_addc_co_u32_e32 v18, vcc, 0, v3, vcc
	v_add_co_u32_e32 v13, vcc, s20, v15
	v_addc_co_u32_e32 v14, vcc, v18, v14, vcc
	v_cmp_eq_u64_e32 vcc, 0, v[13:14]
	v_cndmask_b32_e32 v14, v14, v18, vcc
	v_cndmask_b32_e32 v13, v13, v15, vcc
	v_and_b32_e32 v3, v14, v3
	v_and_b32_e32 v2, v13, v2
	v_mul_lo_u32 v3, v3, 24
	v_mul_hi_u32 v18, v2, 24
	v_mul_lo_u32 v2, v2, 24
	s_waitcnt vmcnt(1)
	v_mov_b32_e32 v15, v9
	v_add_u32_e32 v3, v18, v3
	s_waitcnt vmcnt(0)
	v_add_co_u32_e32 v2, vcc, v16, v2
	v_addc_co_u32_e32 v3, vcc, v17, v3, vcc
	global_store_dwordx2 v[2:3], v[9:10], off
	v_mov_b32_e32 v16, v10
	s_waitcnt vmcnt(0)
	global_atomic_cmpswap_x2 v[15:16], v29, v[13:16], s[44:45] offset:24 glc
	s_waitcnt vmcnt(0)
	v_cmp_ne_u64_e32 vcc, v[15:16], v[9:10]
	s_and_b64 exec, exec, vcc
	s_cbranch_execz .LBB3_29
; %bb.109:                              ;   in Loop: Header=BB3_30 Depth=1
	s_mov_b64 s[4:5], 0
.LBB3_110:                              ;   Parent Loop BB3_30 Depth=1
                                        ; =>  This Inner Loop Header: Depth=2
	s_sleep 1
	global_store_dwordx2 v[2:3], v[15:16], off
	s_waitcnt vmcnt(0)
	global_atomic_cmpswap_x2 v[9:10], v29, v[13:16], s[44:45] offset:24 glc
	s_waitcnt vmcnt(0)
	v_cmp_eq_u64_e32 vcc, v[9:10], v[15:16]
	v_mov_b32_e32 v16, v10
	s_or_b64 s[4:5], vcc, s[4:5]
	v_mov_b32_e32 v15, v9
	s_andn2_b64 exec, exec, s[4:5]
	s_cbranch_execnz .LBB3_110
	s_branch .LBB3_29
.LBB3_111:
	s_branch .LBB3_139
.LBB3_112:
                                        ; implicit-def: $vgpr0_vgpr1
	s_cbranch_execz .LBB3_139
; %bb.113:
	v_readfirstlane_b32 s4, v51
	v_mov_b32_e32 v10, 0
	v_mov_b32_e32 v11, 0
	v_cmp_eq_u32_e64 s[4:5], s4, v51
	s_and_saveexec_b64 s[10:11], s[4:5]
	s_cbranch_execz .LBB3_119
; %bb.114:
	s_waitcnt vmcnt(0)
	v_mov_b32_e32 v0, 0
	global_load_dwordx2 v[12:13], v0, s[44:45] offset:24 glc
	s_waitcnt vmcnt(0)
	buffer_wbinvl1_vol
	global_load_dwordx2 v[1:2], v0, s[44:45] offset:40
	global_load_dwordx2 v[9:10], v0, s[44:45]
	s_waitcnt vmcnt(1)
	v_and_b32_e32 v1, v1, v12
	v_and_b32_e32 v2, v2, v13
	v_mul_lo_u32 v2, v2, 24
	v_mul_hi_u32 v3, v1, 24
	v_mul_lo_u32 v1, v1, 24
	v_add_u32_e32 v2, v3, v2
	s_waitcnt vmcnt(0)
	v_add_co_u32_e32 v1, vcc, v9, v1
	v_addc_co_u32_e32 v2, vcc, v10, v2, vcc
	global_load_dwordx2 v[10:11], v[1:2], off glc
	s_waitcnt vmcnt(0)
	global_atomic_cmpswap_x2 v[10:11], v0, v[10:13], s[44:45] offset:24 glc
	s_waitcnt vmcnt(0)
	buffer_wbinvl1_vol
	v_cmp_ne_u64_e32 vcc, v[10:11], v[12:13]
	s_and_saveexec_b64 s[16:17], vcc
	s_cbranch_execz .LBB3_118
; %bb.115:
	s_mov_b64 s[18:19], 0
.LBB3_116:                              ; =>This Inner Loop Header: Depth=1
	s_sleep 1
	global_load_dwordx2 v[1:2], v0, s[44:45] offset:40
	global_load_dwordx2 v[14:15], v0, s[44:45]
	v_mov_b32_e32 v13, v11
	v_mov_b32_e32 v12, v10
	s_waitcnt vmcnt(1)
	v_and_b32_e32 v1, v1, v12
	s_waitcnt vmcnt(0)
	v_mad_u64_u32 v[9:10], s[20:21], v1, 24, v[14:15]
	v_and_b32_e32 v2, v2, v13
	v_mov_b32_e32 v1, v10
	v_mad_u64_u32 v[1:2], s[20:21], v2, 24, v[1:2]
	v_mov_b32_e32 v10, v1
	global_load_dwordx2 v[10:11], v[9:10], off glc
	s_waitcnt vmcnt(0)
	global_atomic_cmpswap_x2 v[10:11], v0, v[10:13], s[44:45] offset:24 glc
	s_waitcnt vmcnt(0)
	buffer_wbinvl1_vol
	v_cmp_eq_u64_e32 vcc, v[10:11], v[12:13]
	s_or_b64 s[18:19], vcc, s[18:19]
	s_andn2_b64 exec, exec, s[18:19]
	s_cbranch_execnz .LBB3_116
; %bb.117:
	s_or_b64 exec, exec, s[18:19]
.LBB3_118:
	s_or_b64 exec, exec, s[16:17]
.LBB3_119:
	s_or_b64 exec, exec, s[10:11]
	v_mov_b32_e32 v9, 0
	global_load_dwordx2 v[12:13], v9, s[44:45] offset:40
	global_load_dwordx4 v[0:3], v9, s[44:45]
	v_readfirstlane_b32 s10, v10
	v_readfirstlane_b32 s11, v11
	s_mov_b64 s[16:17], exec
	s_waitcnt vmcnt(1)
	v_readfirstlane_b32 s18, v12
	v_readfirstlane_b32 s19, v13
	s_and_b64 s[18:19], s[10:11], s[18:19]
	s_mul_i32 s15, s19, 24
	s_mul_hi_u32 s20, s18, 24
	s_mul_i32 s21, s18, 24
	s_add_i32 s15, s20, s15
	v_mov_b32_e32 v10, s15
	s_waitcnt vmcnt(0)
	v_add_co_u32_e32 v11, vcc, s21, v0
	v_addc_co_u32_e32 v12, vcc, v1, v10, vcc
	s_and_saveexec_b64 s[20:21], s[4:5]
	s_cbranch_execz .LBB3_121
; %bb.120:
	v_mov_b32_e32 v13, s16
	v_mov_b32_e32 v14, s17
	;; [unrolled: 1-line block ×4, first 2 shown]
	global_store_dwordx4 v[11:12], v[13:16], off offset:8
.LBB3_121:
	s_or_b64 exec, exec, s[20:21]
	s_lshl_b64 s[16:17], s[18:19], 12
	v_mov_b32_e32 v10, s17
	v_add_co_u32_e32 v2, vcc, s16, v2
	v_addc_co_u32_e32 v3, vcc, v3, v10, vcc
	s_movk_i32 s15, 0xff1f
	v_and_or_b32 v7, v7, s15, 32
	s_mov_b32 s16, 0
	v_mov_b32_e32 v10, v9
	v_readfirstlane_b32 s20, v2
	v_readfirstlane_b32 s21, v3
	v_add_co_u32_e32 v13, vcc, v2, v50
	s_mov_b32 s17, s16
	s_mov_b32 s18, s16
	;; [unrolled: 1-line block ×3, first 2 shown]
	s_nop 0
	global_store_dwordx4 v50, v[7:10], s[20:21]
	v_addc_co_u32_e32 v14, vcc, 0, v3, vcc
	v_mov_b32_e32 v7, s16
	v_mov_b32_e32 v8, s17
	;; [unrolled: 1-line block ×4, first 2 shown]
	global_store_dwordx4 v50, v[7:10], s[20:21] offset:16
	global_store_dwordx4 v50, v[7:10], s[20:21] offset:32
	;; [unrolled: 1-line block ×3, first 2 shown]
	s_and_saveexec_b64 s[16:17], s[4:5]
	s_cbranch_execz .LBB3_129
; %bb.122:
	v_mov_b32_e32 v9, 0
	global_load_dwordx2 v[17:18], v9, s[44:45] offset:32 glc
	global_load_dwordx2 v[2:3], v9, s[44:45] offset:40
	v_mov_b32_e32 v15, s10
	v_mov_b32_e32 v16, s11
	s_waitcnt vmcnt(0)
	v_readfirstlane_b32 s18, v2
	v_readfirstlane_b32 s19, v3
	s_and_b64 s[18:19], s[18:19], s[10:11]
	s_mul_i32 s15, s19, 24
	s_mul_hi_u32 s19, s18, 24
	s_mul_i32 s18, s18, 24
	s_add_i32 s15, s19, s15
	v_mov_b32_e32 v2, s15
	v_add_co_u32_e32 v7, vcc, s18, v0
	v_addc_co_u32_e32 v8, vcc, v1, v2, vcc
	global_store_dwordx2 v[7:8], v[17:18], off
	s_waitcnt vmcnt(0)
	global_atomic_cmpswap_x2 v[2:3], v9, v[15:18], s[44:45] offset:32 glc
	s_waitcnt vmcnt(0)
	v_cmp_ne_u64_e32 vcc, v[2:3], v[17:18]
	s_and_saveexec_b64 s[18:19], vcc
	s_cbranch_execz .LBB3_125
; %bb.123:
	s_mov_b64 s[20:21], 0
.LBB3_124:                              ; =>This Inner Loop Header: Depth=1
	s_sleep 1
	global_store_dwordx2 v[7:8], v[2:3], off
	v_mov_b32_e32 v0, s10
	v_mov_b32_e32 v1, s11
	s_waitcnt vmcnt(0)
	global_atomic_cmpswap_x2 v[0:1], v9, v[0:3], s[44:45] offset:32 glc
	s_waitcnt vmcnt(0)
	v_cmp_eq_u64_e32 vcc, v[0:1], v[2:3]
	v_mov_b32_e32 v3, v1
	s_or_b64 s[20:21], vcc, s[20:21]
	v_mov_b32_e32 v2, v0
	s_andn2_b64 exec, exec, s[20:21]
	s_cbranch_execnz .LBB3_124
.LBB3_125:
	s_or_b64 exec, exec, s[18:19]
	v_mov_b32_e32 v3, 0
	global_load_dwordx2 v[0:1], v3, s[44:45] offset:16
	s_mov_b64 s[18:19], exec
	v_mbcnt_lo_u32_b32 v2, s18, 0
	v_mbcnt_hi_u32_b32 v2, s19, v2
	v_cmp_eq_u32_e32 vcc, 0, v2
	s_and_saveexec_b64 s[20:21], vcc
	s_cbranch_execz .LBB3_127
; %bb.126:
	s_bcnt1_i32_b64 s15, s[18:19]
	v_mov_b32_e32 v2, s15
	s_waitcnt vmcnt(0)
	global_atomic_add_x2 v[0:1], v[2:3], off offset:8
.LBB3_127:
	s_or_b64 exec, exec, s[20:21]
	s_waitcnt vmcnt(0)
	global_load_dwordx2 v[2:3], v[0:1], off offset:16
	s_waitcnt vmcnt(0)
	v_cmp_eq_u64_e32 vcc, 0, v[2:3]
	s_cbranch_vccnz .LBB3_129
; %bb.128:
	global_load_dword v0, v[0:1], off offset:24
	v_mov_b32_e32 v1, 0
	s_waitcnt vmcnt(0)
	global_store_dwordx2 v[2:3], v[0:1], off
	v_and_b32_e32 v0, 0xffffff, v0
	v_readfirstlane_b32 m0, v0
	s_sendmsg sendmsg(MSG_INTERRUPT)
.LBB3_129:
	s_or_b64 exec, exec, s[16:17]
	s_branch .LBB3_133
.LBB3_130:                              ;   in Loop: Header=BB3_133 Depth=1
	s_or_b64 exec, exec, s[16:17]
	v_readfirstlane_b32 s15, v0
	s_cmp_eq_u32 s15, 0
	s_cbranch_scc1 .LBB3_132
; %bb.131:                              ;   in Loop: Header=BB3_133 Depth=1
	s_sleep 1
	s_cbranch_execnz .LBB3_133
	s_branch .LBB3_135
.LBB3_132:
	s_branch .LBB3_135
.LBB3_133:                              ; =>This Inner Loop Header: Depth=1
	v_mov_b32_e32 v0, 1
	s_and_saveexec_b64 s[16:17], s[4:5]
	s_cbranch_execz .LBB3_130
; %bb.134:                              ;   in Loop: Header=BB3_133 Depth=1
	global_load_dword v0, v[11:12], off offset:20 glc
	s_waitcnt vmcnt(0)
	buffer_wbinvl1_vol
	v_and_b32_e32 v0, 1, v0
	s_branch .LBB3_130
.LBB3_135:
	global_load_dwordx2 v[0:1], v[13:14], off
	s_and_saveexec_b64 s[16:17], s[4:5]
	s_cbranch_execz .LBB3_138
; %bb.136:
	v_mov_b32_e32 v11, 0
	global_load_dwordx2 v[2:3], v11, s[44:45] offset:40
	global_load_dwordx2 v[12:13], v11, s[44:45] offset:24 glc
	global_load_dwordx2 v[14:15], v11, s[44:45]
	v_mov_b32_e32 v8, s11
	s_mov_b64 s[4:5], 0
	s_waitcnt vmcnt(2)
	v_add_co_u32_e32 v9, vcc, 1, v2
	v_addc_co_u32_e32 v10, vcc, 0, v3, vcc
	v_add_co_u32_e32 v7, vcc, s10, v9
	v_addc_co_u32_e32 v8, vcc, v10, v8, vcc
	v_cmp_eq_u64_e32 vcc, 0, v[7:8]
	v_cndmask_b32_e32 v8, v8, v10, vcc
	v_cndmask_b32_e32 v7, v7, v9, vcc
	v_and_b32_e32 v3, v8, v3
	v_and_b32_e32 v2, v7, v2
	v_mul_lo_u32 v3, v3, 24
	v_mul_hi_u32 v10, v2, 24
	v_mul_lo_u32 v2, v2, 24
	s_waitcnt vmcnt(1)
	v_mov_b32_e32 v9, v12
	v_add_u32_e32 v3, v10, v3
	s_waitcnt vmcnt(0)
	v_add_co_u32_e32 v2, vcc, v14, v2
	v_addc_co_u32_e32 v3, vcc, v15, v3, vcc
	global_store_dwordx2 v[2:3], v[12:13], off
	v_mov_b32_e32 v10, v13
	s_waitcnt vmcnt(0)
	global_atomic_cmpswap_x2 v[9:10], v11, v[7:10], s[44:45] offset:24 glc
	s_waitcnt vmcnt(0)
	v_cmp_ne_u64_e32 vcc, v[9:10], v[12:13]
	s_and_b64 exec, exec, vcc
	s_cbranch_execz .LBB3_138
.LBB3_137:                              ; =>This Inner Loop Header: Depth=1
	s_sleep 1
	global_store_dwordx2 v[2:3], v[9:10], off
	s_waitcnt vmcnt(0)
	global_atomic_cmpswap_x2 v[12:13], v11, v[7:10], s[44:45] offset:24 glc
	s_waitcnt vmcnt(0)
	v_cmp_eq_u64_e32 vcc, v[12:13], v[9:10]
	v_mov_b32_e32 v9, v12
	s_or_b64 s[4:5], vcc, s[4:5]
	v_mov_b32_e32 v10, v13
	s_andn2_b64 exec, exec, s[4:5]
	s_cbranch_execnz .LBB3_137
.LBB3_138:
	s_or_b64 exec, exec, s[16:17]
.LBB3_139:
	s_getpc_b64 s[10:11]
	s_add_u32 s10, s10, __PRETTY_FUNCTION__._ZL13copy_if_basicRN8migraphx4test12test_managerE@rel32@lo+4
	s_addc_u32 s11, s11, __PRETTY_FUNCTION__._ZL13copy_if_basicRN8migraphx4test12test_managerE@rel32@hi+12
	s_cmp_lg_u64 s[10:11], 0
	s_cbranch_scc0 .LBB3_224
; %bb.140:
	s_waitcnt vmcnt(0)
	v_and_b32_e32 v11, -3, v0
	v_mov_b32_e32 v12, v1
	s_mov_b64 s[16:17], 51
	v_mov_b32_e32 v3, 0
	v_mov_b32_e32 v9, 2
	;; [unrolled: 1-line block ×3, first 2 shown]
	s_branch .LBB3_142
.LBB3_141:                              ;   in Loop: Header=BB3_142 Depth=1
	s_or_b64 exec, exec, s[22:23]
	s_sub_u32 s16, s16, s18
	s_subb_u32 s17, s17, s19
	s_add_u32 s10, s10, s18
	s_addc_u32 s11, s11, s19
	s_cmp_lg_u64 s[16:17], 0
	s_cbranch_scc0 .LBB3_223
.LBB3_142:                              ; =>This Loop Header: Depth=1
                                        ;     Child Loop BB3_145 Depth 2
                                        ;     Child Loop BB3_152 Depth 2
	;; [unrolled: 1-line block ×11, first 2 shown]
	v_cmp_lt_u64_e64 s[4:5], s[16:17], 56
	v_cmp_gt_u64_e64 s[20:21], s[16:17], 7
	s_and_b64 s[4:5], s[4:5], exec
	s_cselect_b32 s19, s17, 0
	s_cselect_b32 s18, s16, 56
	s_and_b64 vcc, exec, s[20:21]
	s_cbranch_vccnz .LBB3_147
; %bb.143:                              ;   in Loop: Header=BB3_142 Depth=1
	s_waitcnt vmcnt(0)
	v_mov_b32_e32 v13, 0
	s_cmp_eq_u64 s[16:17], 0
	v_mov_b32_e32 v14, 0
	s_mov_b64 s[4:5], 0
	s_cbranch_scc1 .LBB3_146
; %bb.144:                              ;   in Loop: Header=BB3_142 Depth=1
	v_mov_b32_e32 v13, 0
	s_lshl_b64 s[20:21], s[18:19], 3
	s_mov_b64 s[22:23], 0
	v_mov_b32_e32 v14, 0
	s_mov_b64 s[24:25], s[10:11]
.LBB3_145:                              ;   Parent Loop BB3_142 Depth=1
                                        ; =>  This Inner Loop Header: Depth=2
	global_load_ubyte v2, v3, s[24:25]
	s_waitcnt vmcnt(0)
	v_and_b32_e32 v2, 0xffff, v2
	v_lshlrev_b64 v[7:8], s22, v[2:3]
	s_add_u32 s22, s22, 8
	s_addc_u32 s23, s23, 0
	s_add_u32 s24, s24, 1
	s_addc_u32 s25, s25, 0
	v_or_b32_e32 v13, v7, v13
	s_cmp_lg_u32 s20, s22
	v_or_b32_e32 v14, v8, v14
	s_cbranch_scc1 .LBB3_145
.LBB3_146:                              ;   in Loop: Header=BB3_142 Depth=1
	s_mov_b32 s15, 0
	s_andn2_b64 vcc, exec, s[4:5]
	s_mov_b64 s[4:5], s[10:11]
	s_cbranch_vccz .LBB3_148
	s_branch .LBB3_149
.LBB3_147:                              ;   in Loop: Header=BB3_142 Depth=1
                                        ; implicit-def: $sgpr15
	s_mov_b64 s[4:5], s[10:11]
.LBB3_148:                              ;   in Loop: Header=BB3_142 Depth=1
	global_load_dwordx2 v[13:14], v3, s[10:11]
	s_add_i32 s15, s18, -8
	s_add_u32 s4, s10, 8
	s_addc_u32 s5, s11, 0
.LBB3_149:                              ;   in Loop: Header=BB3_142 Depth=1
	s_cmp_gt_u32 s15, 7
	s_cbranch_scc1 .LBB3_153
; %bb.150:                              ;   in Loop: Header=BB3_142 Depth=1
	s_cmp_eq_u32 s15, 0
	s_cbranch_scc1 .LBB3_154
; %bb.151:                              ;   in Loop: Header=BB3_142 Depth=1
	v_mov_b32_e32 v15, 0
	s_mov_b64 s[20:21], 0
	v_mov_b32_e32 v16, 0
	s_mov_b64 s[22:23], 0
.LBB3_152:                              ;   Parent Loop BB3_142 Depth=1
                                        ; =>  This Inner Loop Header: Depth=2
	s_add_u32 s24, s4, s22
	s_addc_u32 s25, s5, s23
	global_load_ubyte v2, v3, s[24:25]
	s_add_u32 s22, s22, 1
	s_addc_u32 s23, s23, 0
	s_waitcnt vmcnt(0)
	v_and_b32_e32 v2, 0xffff, v2
	v_lshlrev_b64 v[7:8], s20, v[2:3]
	s_add_u32 s20, s20, 8
	s_addc_u32 s21, s21, 0
	v_or_b32_e32 v15, v7, v15
	s_cmp_lg_u32 s15, s22
	v_or_b32_e32 v16, v8, v16
	s_cbranch_scc1 .LBB3_152
	s_branch .LBB3_155
.LBB3_153:                              ;   in Loop: Header=BB3_142 Depth=1
                                        ; implicit-def: $vgpr15_vgpr16
                                        ; implicit-def: $sgpr24
	s_branch .LBB3_156
.LBB3_154:                              ;   in Loop: Header=BB3_142 Depth=1
	v_mov_b32_e32 v15, 0
	v_mov_b32_e32 v16, 0
.LBB3_155:                              ;   in Loop: Header=BB3_142 Depth=1
	s_mov_b32 s24, 0
	s_cbranch_execnz .LBB3_157
.LBB3_156:                              ;   in Loop: Header=BB3_142 Depth=1
	global_load_dwordx2 v[15:16], v3, s[4:5]
	s_add_i32 s24, s15, -8
	s_add_u32 s4, s4, 8
	s_addc_u32 s5, s5, 0
.LBB3_157:                              ;   in Loop: Header=BB3_142 Depth=1
	s_cmp_gt_u32 s24, 7
	s_cbranch_scc1 .LBB3_161
; %bb.158:                              ;   in Loop: Header=BB3_142 Depth=1
	s_cmp_eq_u32 s24, 0
	s_cbranch_scc1 .LBB3_162
; %bb.159:                              ;   in Loop: Header=BB3_142 Depth=1
	v_mov_b32_e32 v17, 0
	s_mov_b64 s[20:21], 0
	v_mov_b32_e32 v18, 0
	s_mov_b64 s[22:23], 0
.LBB3_160:                              ;   Parent Loop BB3_142 Depth=1
                                        ; =>  This Inner Loop Header: Depth=2
	s_add_u32 s26, s4, s22
	s_addc_u32 s27, s5, s23
	global_load_ubyte v2, v3, s[26:27]
	s_add_u32 s22, s22, 1
	s_addc_u32 s23, s23, 0
	s_waitcnt vmcnt(0)
	v_and_b32_e32 v2, 0xffff, v2
	v_lshlrev_b64 v[7:8], s20, v[2:3]
	s_add_u32 s20, s20, 8
	s_addc_u32 s21, s21, 0
	v_or_b32_e32 v17, v7, v17
	s_cmp_lg_u32 s24, s22
	v_or_b32_e32 v18, v8, v18
	s_cbranch_scc1 .LBB3_160
	s_branch .LBB3_163
.LBB3_161:                              ;   in Loop: Header=BB3_142 Depth=1
                                        ; implicit-def: $sgpr15
	s_branch .LBB3_164
.LBB3_162:                              ;   in Loop: Header=BB3_142 Depth=1
	v_mov_b32_e32 v17, 0
	v_mov_b32_e32 v18, 0
.LBB3_163:                              ;   in Loop: Header=BB3_142 Depth=1
	s_mov_b32 s15, 0
	s_cbranch_execnz .LBB3_165
.LBB3_164:                              ;   in Loop: Header=BB3_142 Depth=1
	global_load_dwordx2 v[17:18], v3, s[4:5]
	s_add_i32 s15, s24, -8
	s_add_u32 s4, s4, 8
	s_addc_u32 s5, s5, 0
.LBB3_165:                              ;   in Loop: Header=BB3_142 Depth=1
	s_cmp_gt_u32 s15, 7
	s_cbranch_scc1 .LBB3_169
; %bb.166:                              ;   in Loop: Header=BB3_142 Depth=1
	s_cmp_eq_u32 s15, 0
	s_cbranch_scc1 .LBB3_170
; %bb.167:                              ;   in Loop: Header=BB3_142 Depth=1
	v_mov_b32_e32 v19, 0
	s_mov_b64 s[20:21], 0
	v_mov_b32_e32 v20, 0
	s_mov_b64 s[22:23], 0
.LBB3_168:                              ;   Parent Loop BB3_142 Depth=1
                                        ; =>  This Inner Loop Header: Depth=2
	s_add_u32 s24, s4, s22
	s_addc_u32 s25, s5, s23
	global_load_ubyte v2, v3, s[24:25]
	s_add_u32 s22, s22, 1
	s_addc_u32 s23, s23, 0
	s_waitcnt vmcnt(0)
	v_and_b32_e32 v2, 0xffff, v2
	v_lshlrev_b64 v[7:8], s20, v[2:3]
	s_add_u32 s20, s20, 8
	s_addc_u32 s21, s21, 0
	v_or_b32_e32 v19, v7, v19
	s_cmp_lg_u32 s15, s22
	v_or_b32_e32 v20, v8, v20
	s_cbranch_scc1 .LBB3_168
	s_branch .LBB3_171
.LBB3_169:                              ;   in Loop: Header=BB3_142 Depth=1
                                        ; implicit-def: $vgpr19_vgpr20
                                        ; implicit-def: $sgpr24
	s_branch .LBB3_172
.LBB3_170:                              ;   in Loop: Header=BB3_142 Depth=1
	v_mov_b32_e32 v19, 0
	v_mov_b32_e32 v20, 0
.LBB3_171:                              ;   in Loop: Header=BB3_142 Depth=1
	s_mov_b32 s24, 0
	s_cbranch_execnz .LBB3_173
.LBB3_172:                              ;   in Loop: Header=BB3_142 Depth=1
	global_load_dwordx2 v[19:20], v3, s[4:5]
	s_add_i32 s24, s15, -8
	s_add_u32 s4, s4, 8
	s_addc_u32 s5, s5, 0
.LBB3_173:                              ;   in Loop: Header=BB3_142 Depth=1
	s_cmp_gt_u32 s24, 7
	s_cbranch_scc1 .LBB3_177
; %bb.174:                              ;   in Loop: Header=BB3_142 Depth=1
	s_cmp_eq_u32 s24, 0
	s_cbranch_scc1 .LBB3_178
; %bb.175:                              ;   in Loop: Header=BB3_142 Depth=1
	v_mov_b32_e32 v21, 0
	s_mov_b64 s[20:21], 0
	v_mov_b32_e32 v22, 0
	s_mov_b64 s[22:23], 0
.LBB3_176:                              ;   Parent Loop BB3_142 Depth=1
                                        ; =>  This Inner Loop Header: Depth=2
	s_add_u32 s26, s4, s22
	s_addc_u32 s27, s5, s23
	global_load_ubyte v2, v3, s[26:27]
	s_add_u32 s22, s22, 1
	s_addc_u32 s23, s23, 0
	s_waitcnt vmcnt(0)
	v_and_b32_e32 v2, 0xffff, v2
	v_lshlrev_b64 v[7:8], s20, v[2:3]
	s_add_u32 s20, s20, 8
	s_addc_u32 s21, s21, 0
	v_or_b32_e32 v21, v7, v21
	s_cmp_lg_u32 s24, s22
	v_or_b32_e32 v22, v8, v22
	s_cbranch_scc1 .LBB3_176
	s_branch .LBB3_179
.LBB3_177:                              ;   in Loop: Header=BB3_142 Depth=1
                                        ; implicit-def: $sgpr15
	s_branch .LBB3_180
.LBB3_178:                              ;   in Loop: Header=BB3_142 Depth=1
	v_mov_b32_e32 v21, 0
	v_mov_b32_e32 v22, 0
.LBB3_179:                              ;   in Loop: Header=BB3_142 Depth=1
	s_mov_b32 s15, 0
	s_cbranch_execnz .LBB3_181
.LBB3_180:                              ;   in Loop: Header=BB3_142 Depth=1
	global_load_dwordx2 v[21:22], v3, s[4:5]
	s_add_i32 s15, s24, -8
	s_add_u32 s4, s4, 8
	s_addc_u32 s5, s5, 0
.LBB3_181:                              ;   in Loop: Header=BB3_142 Depth=1
	s_cmp_gt_u32 s15, 7
	s_cbranch_scc1 .LBB3_185
; %bb.182:                              ;   in Loop: Header=BB3_142 Depth=1
	s_cmp_eq_u32 s15, 0
	s_cbranch_scc1 .LBB3_186
; %bb.183:                              ;   in Loop: Header=BB3_142 Depth=1
	v_mov_b32_e32 v23, 0
	s_mov_b64 s[20:21], 0
	v_mov_b32_e32 v24, 0
	s_mov_b64 s[22:23], 0
.LBB3_184:                              ;   Parent Loop BB3_142 Depth=1
                                        ; =>  This Inner Loop Header: Depth=2
	s_add_u32 s24, s4, s22
	s_addc_u32 s25, s5, s23
	global_load_ubyte v2, v3, s[24:25]
	s_add_u32 s22, s22, 1
	s_addc_u32 s23, s23, 0
	s_waitcnt vmcnt(0)
	v_and_b32_e32 v2, 0xffff, v2
	v_lshlrev_b64 v[7:8], s20, v[2:3]
	s_add_u32 s20, s20, 8
	s_addc_u32 s21, s21, 0
	v_or_b32_e32 v23, v7, v23
	s_cmp_lg_u32 s15, s22
	v_or_b32_e32 v24, v8, v24
	s_cbranch_scc1 .LBB3_184
	s_branch .LBB3_187
.LBB3_185:                              ;   in Loop: Header=BB3_142 Depth=1
                                        ; implicit-def: $vgpr23_vgpr24
                                        ; implicit-def: $sgpr24
	s_branch .LBB3_188
.LBB3_186:                              ;   in Loop: Header=BB3_142 Depth=1
	v_mov_b32_e32 v23, 0
	v_mov_b32_e32 v24, 0
.LBB3_187:                              ;   in Loop: Header=BB3_142 Depth=1
	s_mov_b32 s24, 0
	s_cbranch_execnz .LBB3_189
.LBB3_188:                              ;   in Loop: Header=BB3_142 Depth=1
	global_load_dwordx2 v[23:24], v3, s[4:5]
	s_add_i32 s24, s15, -8
	s_add_u32 s4, s4, 8
	s_addc_u32 s5, s5, 0
.LBB3_189:                              ;   in Loop: Header=BB3_142 Depth=1
	s_cmp_gt_u32 s24, 7
	s_cbranch_scc1 .LBB3_193
; %bb.190:                              ;   in Loop: Header=BB3_142 Depth=1
	s_cmp_eq_u32 s24, 0
	s_cbranch_scc1 .LBB3_194
; %bb.191:                              ;   in Loop: Header=BB3_142 Depth=1
	v_mov_b32_e32 v25, 0
	s_mov_b64 s[20:21], 0
	v_mov_b32_e32 v26, 0
	s_mov_b64 s[22:23], s[4:5]
.LBB3_192:                              ;   Parent Loop BB3_142 Depth=1
                                        ; =>  This Inner Loop Header: Depth=2
	global_load_ubyte v2, v3, s[22:23]
	s_add_i32 s24, s24, -1
	s_waitcnt vmcnt(0)
	v_and_b32_e32 v2, 0xffff, v2
	v_lshlrev_b64 v[7:8], s20, v[2:3]
	s_add_u32 s20, s20, 8
	s_addc_u32 s21, s21, 0
	s_add_u32 s22, s22, 1
	s_addc_u32 s23, s23, 0
	v_or_b32_e32 v25, v7, v25
	s_cmp_lg_u32 s24, 0
	v_or_b32_e32 v26, v8, v26
	s_cbranch_scc1 .LBB3_192
	s_branch .LBB3_195
.LBB3_193:                              ;   in Loop: Header=BB3_142 Depth=1
	s_branch .LBB3_196
.LBB3_194:                              ;   in Loop: Header=BB3_142 Depth=1
	v_mov_b32_e32 v25, 0
	v_mov_b32_e32 v26, 0
.LBB3_195:                              ;   in Loop: Header=BB3_142 Depth=1
	s_cbranch_execnz .LBB3_197
.LBB3_196:                              ;   in Loop: Header=BB3_142 Depth=1
	global_load_dwordx2 v[25:26], v3, s[4:5]
.LBB3_197:                              ;   in Loop: Header=BB3_142 Depth=1
	v_readfirstlane_b32 s4, v51
	v_mov_b32_e32 v7, 0
	v_mov_b32_e32 v8, 0
	v_cmp_eq_u32_e64 s[4:5], s4, v51
	s_and_saveexec_b64 s[20:21], s[4:5]
	s_cbranch_execz .LBB3_203
; %bb.198:                              ;   in Loop: Header=BB3_142 Depth=1
	global_load_dwordx2 v[29:30], v3, s[44:45] offset:24 glc
	s_waitcnt vmcnt(0)
	buffer_wbinvl1_vol
	global_load_dwordx2 v[7:8], v3, s[44:45] offset:40
	global_load_dwordx2 v[27:28], v3, s[44:45]
	s_waitcnt vmcnt(1)
	v_and_b32_e32 v2, v7, v29
	v_and_b32_e32 v7, v8, v30
	v_mul_lo_u32 v7, v7, 24
	v_mul_hi_u32 v8, v2, 24
	v_mul_lo_u32 v2, v2, 24
	v_add_u32_e32 v8, v8, v7
	s_waitcnt vmcnt(0)
	v_add_co_u32_e32 v7, vcc, v27, v2
	v_addc_co_u32_e32 v8, vcc, v28, v8, vcc
	global_load_dwordx2 v[27:28], v[7:8], off glc
	s_waitcnt vmcnt(0)
	global_atomic_cmpswap_x2 v[7:8], v3, v[27:30], s[44:45] offset:24 glc
	s_waitcnt vmcnt(0)
	buffer_wbinvl1_vol
	v_cmp_ne_u64_e32 vcc, v[7:8], v[29:30]
	s_and_saveexec_b64 s[22:23], vcc
	s_cbranch_execz .LBB3_202
; %bb.199:                              ;   in Loop: Header=BB3_142 Depth=1
	s_mov_b64 s[24:25], 0
.LBB3_200:                              ;   Parent Loop BB3_142 Depth=1
                                        ; =>  This Inner Loop Header: Depth=2
	s_sleep 1
	global_load_dwordx2 v[27:28], v3, s[44:45] offset:40
	global_load_dwordx2 v[31:32], v3, s[44:45]
	v_mov_b32_e32 v30, v8
	v_mov_b32_e32 v29, v7
	s_waitcnt vmcnt(1)
	v_and_b32_e32 v2, v27, v29
	s_waitcnt vmcnt(0)
	v_mad_u64_u32 v[7:8], s[26:27], v2, 24, v[31:32]
	v_and_b32_e32 v27, v28, v30
	v_mov_b32_e32 v2, v8
	v_mad_u64_u32 v[27:28], s[26:27], v27, 24, v[2:3]
	v_mov_b32_e32 v8, v27
	global_load_dwordx2 v[27:28], v[7:8], off glc
	s_waitcnt vmcnt(0)
	global_atomic_cmpswap_x2 v[7:8], v3, v[27:30], s[44:45] offset:24 glc
	s_waitcnt vmcnt(0)
	buffer_wbinvl1_vol
	v_cmp_eq_u64_e32 vcc, v[7:8], v[29:30]
	s_or_b64 s[24:25], vcc, s[24:25]
	s_andn2_b64 exec, exec, s[24:25]
	s_cbranch_execnz .LBB3_200
; %bb.201:                              ;   in Loop: Header=BB3_142 Depth=1
	s_or_b64 exec, exec, s[24:25]
.LBB3_202:                              ;   in Loop: Header=BB3_142 Depth=1
	s_or_b64 exec, exec, s[22:23]
.LBB3_203:                              ;   in Loop: Header=BB3_142 Depth=1
	s_or_b64 exec, exec, s[20:21]
	global_load_dwordx2 v[31:32], v3, s[44:45] offset:40
	global_load_dwordx4 v[27:30], v3, s[44:45]
	v_readfirstlane_b32 s20, v7
	v_readfirstlane_b32 s21, v8
	s_mov_b64 s[22:23], exec
	s_waitcnt vmcnt(1)
	v_readfirstlane_b32 s24, v31
	v_readfirstlane_b32 s25, v32
	s_and_b64 s[24:25], s[20:21], s[24:25]
	s_mul_i32 s15, s25, 24
	s_mul_hi_u32 s26, s24, 24
	s_mul_i32 s27, s24, 24
	s_add_i32 s15, s26, s15
	v_mov_b32_e32 v2, s15
	s_waitcnt vmcnt(0)
	v_add_co_u32_e32 v31, vcc, s27, v27
	v_addc_co_u32_e32 v32, vcc, v28, v2, vcc
	s_and_saveexec_b64 s[26:27], s[4:5]
	s_cbranch_execz .LBB3_205
; %bb.204:                              ;   in Loop: Header=BB3_142 Depth=1
	v_mov_b32_e32 v7, s22
	v_mov_b32_e32 v8, s23
	global_store_dwordx4 v[31:32], v[7:10], off offset:8
.LBB3_205:                              ;   in Loop: Header=BB3_142 Depth=1
	s_or_b64 exec, exec, s[26:27]
	s_lshl_b64 s[22:23], s[24:25], 12
	v_mov_b32_e32 v2, s23
	v_add_co_u32_e32 v29, vcc, s22, v29
	v_addc_co_u32_e32 v30, vcc, v30, v2, vcc
	v_cmp_gt_u64_e64 vcc, s[16:17], 56
	v_or_b32_e32 v2, 2, v11
	s_lshl_b32 s15, s18, 2
	v_cndmask_b32_e32 v2, v2, v11, vcc
	s_add_i32 s15, s15, 28
	s_and_b32 s15, s15, 0x1e0
	v_and_b32_e32 v2, 0xffffff1f, v2
	v_or_b32_e32 v11, s15, v2
	v_readfirstlane_b32 s22, v29
	v_readfirstlane_b32 s23, v30
	s_nop 4
	global_store_dwordx4 v50, v[11:14], s[22:23]
	global_store_dwordx4 v50, v[15:18], s[22:23] offset:16
	global_store_dwordx4 v50, v[19:22], s[22:23] offset:32
	;; [unrolled: 1-line block ×3, first 2 shown]
	s_and_saveexec_b64 s[22:23], s[4:5]
	s_cbranch_execz .LBB3_213
; %bb.206:                              ;   in Loop: Header=BB3_142 Depth=1
	global_load_dwordx2 v[15:16], v3, s[44:45] offset:32 glc
	global_load_dwordx2 v[7:8], v3, s[44:45] offset:40
	v_mov_b32_e32 v13, s20
	v_mov_b32_e32 v14, s21
	s_waitcnt vmcnt(0)
	v_readfirstlane_b32 s24, v7
	v_readfirstlane_b32 s25, v8
	s_and_b64 s[24:25], s[24:25], s[20:21]
	s_mul_i32 s15, s25, 24
	s_mul_hi_u32 s25, s24, 24
	s_mul_i32 s24, s24, 24
	s_add_i32 s15, s25, s15
	v_mov_b32_e32 v2, s15
	v_add_co_u32_e32 v7, vcc, s24, v27
	v_addc_co_u32_e32 v8, vcc, v28, v2, vcc
	global_store_dwordx2 v[7:8], v[15:16], off
	s_waitcnt vmcnt(0)
	global_atomic_cmpswap_x2 v[13:14], v3, v[13:16], s[44:45] offset:32 glc
	s_waitcnt vmcnt(0)
	v_cmp_ne_u64_e32 vcc, v[13:14], v[15:16]
	s_and_saveexec_b64 s[24:25], vcc
	s_cbranch_execz .LBB3_209
; %bb.207:                              ;   in Loop: Header=BB3_142 Depth=1
	s_mov_b64 s[26:27], 0
.LBB3_208:                              ;   Parent Loop BB3_142 Depth=1
                                        ; =>  This Inner Loop Header: Depth=2
	s_sleep 1
	global_store_dwordx2 v[7:8], v[13:14], off
	v_mov_b32_e32 v11, s20
	v_mov_b32_e32 v12, s21
	s_waitcnt vmcnt(0)
	global_atomic_cmpswap_x2 v[11:12], v3, v[11:14], s[44:45] offset:32 glc
	s_waitcnt vmcnt(0)
	v_cmp_eq_u64_e32 vcc, v[11:12], v[13:14]
	v_mov_b32_e32 v14, v12
	s_or_b64 s[26:27], vcc, s[26:27]
	v_mov_b32_e32 v13, v11
	s_andn2_b64 exec, exec, s[26:27]
	s_cbranch_execnz .LBB3_208
.LBB3_209:                              ;   in Loop: Header=BB3_142 Depth=1
	s_or_b64 exec, exec, s[24:25]
	global_load_dwordx2 v[7:8], v3, s[44:45] offset:16
	s_mov_b64 s[26:27], exec
	v_mbcnt_lo_u32_b32 v2, s26, 0
	v_mbcnt_hi_u32_b32 v2, s27, v2
	v_cmp_eq_u32_e32 vcc, 0, v2
	s_and_saveexec_b64 s[24:25], vcc
	s_cbranch_execz .LBB3_211
; %bb.210:                              ;   in Loop: Header=BB3_142 Depth=1
	s_bcnt1_i32_b64 s15, s[26:27]
	v_mov_b32_e32 v2, s15
	s_waitcnt vmcnt(0)
	global_atomic_add_x2 v[7:8], v[2:3], off offset:8
.LBB3_211:                              ;   in Loop: Header=BB3_142 Depth=1
	s_or_b64 exec, exec, s[24:25]
	s_waitcnt vmcnt(0)
	global_load_dwordx2 v[11:12], v[7:8], off offset:16
	s_waitcnt vmcnt(0)
	v_cmp_eq_u64_e32 vcc, 0, v[11:12]
	s_cbranch_vccnz .LBB3_213
; %bb.212:                              ;   in Loop: Header=BB3_142 Depth=1
	global_load_dword v2, v[7:8], off offset:24
	s_waitcnt vmcnt(0)
	global_store_dwordx2 v[11:12], v[2:3], off
	v_and_b32_e32 v2, 0xffffff, v2
	v_readfirstlane_b32 m0, v2
	s_sendmsg sendmsg(MSG_INTERRUPT)
.LBB3_213:                              ;   in Loop: Header=BB3_142 Depth=1
	s_or_b64 exec, exec, s[22:23]
	v_add_co_u32_e32 v7, vcc, v29, v50
	v_addc_co_u32_e32 v8, vcc, 0, v30, vcc
	s_branch .LBB3_217
.LBB3_214:                              ;   in Loop: Header=BB3_217 Depth=2
	s_or_b64 exec, exec, s[22:23]
	v_readfirstlane_b32 s15, v2
	s_cmp_eq_u32 s15, 0
	s_cbranch_scc1 .LBB3_216
; %bb.215:                              ;   in Loop: Header=BB3_217 Depth=2
	s_sleep 1
	s_cbranch_execnz .LBB3_217
	s_branch .LBB3_219
.LBB3_216:                              ;   in Loop: Header=BB3_142 Depth=1
	s_branch .LBB3_219
.LBB3_217:                              ;   Parent Loop BB3_142 Depth=1
                                        ; =>  This Inner Loop Header: Depth=2
	v_mov_b32_e32 v2, 1
	s_and_saveexec_b64 s[22:23], s[4:5]
	s_cbranch_execz .LBB3_214
; %bb.218:                              ;   in Loop: Header=BB3_217 Depth=2
	global_load_dword v2, v[31:32], off offset:20 glc
	s_waitcnt vmcnt(0)
	buffer_wbinvl1_vol
	v_and_b32_e32 v2, 1, v2
	s_branch .LBB3_214
.LBB3_219:                              ;   in Loop: Header=BB3_142 Depth=1
	global_load_dwordx4 v[11:14], v[7:8], off
	s_and_saveexec_b64 s[22:23], s[4:5]
	s_cbranch_execz .LBB3_141
; %bb.220:                              ;   in Loop: Header=BB3_142 Depth=1
	global_load_dwordx2 v[7:8], v3, s[44:45] offset:40
	global_load_dwordx2 v[17:18], v3, s[44:45] offset:24 glc
	global_load_dwordx2 v[19:20], v3, s[44:45]
	v_mov_b32_e32 v2, s21
	s_waitcnt vmcnt(2)
	v_add_co_u32_e32 v15, vcc, 1, v7
	v_addc_co_u32_e32 v16, vcc, 0, v8, vcc
	v_add_co_u32_e32 v13, vcc, s20, v15
	v_addc_co_u32_e32 v14, vcc, v16, v2, vcc
	v_cmp_eq_u64_e32 vcc, 0, v[13:14]
	v_cndmask_b32_e32 v14, v14, v16, vcc
	v_cndmask_b32_e32 v13, v13, v15, vcc
	v_and_b32_e32 v2, v14, v8
	v_and_b32_e32 v7, v13, v7
	v_mul_lo_u32 v2, v2, 24
	v_mul_hi_u32 v8, v7, 24
	v_mul_lo_u32 v7, v7, 24
	s_waitcnt vmcnt(1)
	v_mov_b32_e32 v15, v17
	v_mov_b32_e32 v16, v18
	v_add_u32_e32 v2, v8, v2
	s_waitcnt vmcnt(0)
	v_add_co_u32_e32 v7, vcc, v19, v7
	v_addc_co_u32_e32 v8, vcc, v20, v2, vcc
	global_store_dwordx2 v[7:8], v[17:18], off
	s_waitcnt vmcnt(0)
	global_atomic_cmpswap_x2 v[15:16], v3, v[13:16], s[44:45] offset:24 glc
	s_waitcnt vmcnt(0)
	v_cmp_ne_u64_e32 vcc, v[15:16], v[17:18]
	s_and_b64 exec, exec, vcc
	s_cbranch_execz .LBB3_141
; %bb.221:                              ;   in Loop: Header=BB3_142 Depth=1
	s_mov_b64 s[4:5], 0
.LBB3_222:                              ;   Parent Loop BB3_142 Depth=1
                                        ; =>  This Inner Loop Header: Depth=2
	s_sleep 1
	global_store_dwordx2 v[7:8], v[15:16], off
	s_waitcnt vmcnt(0)
	global_atomic_cmpswap_x2 v[17:18], v3, v[13:16], s[44:45] offset:24 glc
	s_waitcnt vmcnt(0)
	v_cmp_eq_u64_e32 vcc, v[17:18], v[15:16]
	v_mov_b32_e32 v15, v17
	s_or_b64 s[4:5], vcc, s[4:5]
	v_mov_b32_e32 v16, v18
	s_andn2_b64 exec, exec, s[4:5]
	s_cbranch_execnz .LBB3_222
	s_branch .LBB3_141
.LBB3_223:
	s_branch .LBB3_251
.LBB3_224:
	s_cbranch_execz .LBB3_251
; %bb.225:
	v_readfirstlane_b32 s4, v51
	s_waitcnt vmcnt(0)
	v_mov_b32_e32 v11, 0
	v_mov_b32_e32 v12, 0
	v_cmp_eq_u32_e64 s[4:5], s4, v51
	s_and_saveexec_b64 s[10:11], s[4:5]
	s_cbranch_execz .LBB3_231
; %bb.226:
	v_mov_b32_e32 v2, 0
	global_load_dwordx2 v[9:10], v2, s[44:45] offset:24 glc
	s_waitcnt vmcnt(0)
	buffer_wbinvl1_vol
	global_load_dwordx2 v[7:8], v2, s[44:45] offset:40
	global_load_dwordx2 v[11:12], v2, s[44:45]
	s_waitcnt vmcnt(1)
	v_and_b32_e32 v3, v7, v9
	v_and_b32_e32 v7, v8, v10
	v_mul_lo_u32 v7, v7, 24
	v_mul_hi_u32 v8, v3, 24
	v_mul_lo_u32 v3, v3, 24
	v_add_u32_e32 v8, v8, v7
	s_waitcnt vmcnt(0)
	v_add_co_u32_e32 v7, vcc, v11, v3
	v_addc_co_u32_e32 v8, vcc, v12, v8, vcc
	global_load_dwordx2 v[7:8], v[7:8], off glc
	s_waitcnt vmcnt(0)
	global_atomic_cmpswap_x2 v[11:12], v2, v[7:10], s[44:45] offset:24 glc
	s_waitcnt vmcnt(0)
	buffer_wbinvl1_vol
	v_cmp_ne_u64_e32 vcc, v[11:12], v[9:10]
	s_and_saveexec_b64 s[16:17], vcc
	s_cbranch_execz .LBB3_230
; %bb.227:
	s_mov_b64 s[18:19], 0
.LBB3_228:                              ; =>This Inner Loop Header: Depth=1
	s_sleep 1
	global_load_dwordx2 v[7:8], v2, s[44:45] offset:40
	global_load_dwordx2 v[13:14], v2, s[44:45]
	v_mov_b32_e32 v9, v11
	v_mov_b32_e32 v10, v12
	s_waitcnt vmcnt(1)
	v_and_b32_e32 v3, v7, v9
	s_waitcnt vmcnt(0)
	v_mad_u64_u32 v[11:12], s[20:21], v3, 24, v[13:14]
	v_and_b32_e32 v7, v8, v10
	v_mov_b32_e32 v3, v12
	v_mad_u64_u32 v[7:8], s[20:21], v7, 24, v[3:4]
	v_mov_b32_e32 v12, v7
	global_load_dwordx2 v[7:8], v[11:12], off glc
	s_waitcnt vmcnt(0)
	global_atomic_cmpswap_x2 v[11:12], v2, v[7:10], s[44:45] offset:24 glc
	s_waitcnt vmcnt(0)
	buffer_wbinvl1_vol
	v_cmp_eq_u64_e32 vcc, v[11:12], v[9:10]
	s_or_b64 s[18:19], vcc, s[18:19]
	s_andn2_b64 exec, exec, s[18:19]
	s_cbranch_execnz .LBB3_228
; %bb.229:
	s_or_b64 exec, exec, s[18:19]
.LBB3_230:
	s_or_b64 exec, exec, s[16:17]
.LBB3_231:
	s_or_b64 exec, exec, s[10:11]
	v_mov_b32_e32 v2, 0
	global_load_dwordx2 v[13:14], v2, s[44:45] offset:40
	global_load_dwordx4 v[7:10], v2, s[44:45]
	v_readfirstlane_b32 s10, v11
	v_readfirstlane_b32 s11, v12
	s_mov_b64 s[16:17], exec
	s_waitcnt vmcnt(1)
	v_readfirstlane_b32 s18, v13
	v_readfirstlane_b32 s19, v14
	s_and_b64 s[18:19], s[10:11], s[18:19]
	s_mul_i32 s15, s19, 24
	s_mul_hi_u32 s20, s18, 24
	s_mul_i32 s21, s18, 24
	s_add_i32 s15, s20, s15
	v_mov_b32_e32 v3, s15
	s_waitcnt vmcnt(0)
	v_add_co_u32_e32 v11, vcc, s21, v7
	v_addc_co_u32_e32 v12, vcc, v8, v3, vcc
	s_and_saveexec_b64 s[20:21], s[4:5]
	s_cbranch_execz .LBB3_233
; %bb.232:
	v_mov_b32_e32 v13, s16
	v_mov_b32_e32 v14, s17
	;; [unrolled: 1-line block ×4, first 2 shown]
	global_store_dwordx4 v[11:12], v[13:16], off offset:8
.LBB3_233:
	s_or_b64 exec, exec, s[20:21]
	s_lshl_b64 s[16:17], s[18:19], 12
	v_mov_b32_e32 v3, s17
	v_add_co_u32_e32 v9, vcc, s16, v9
	v_addc_co_u32_e32 v10, vcc, v10, v3, vcc
	s_movk_i32 s15, 0xff1d
	v_and_or_b32 v0, v0, s15, 34
	s_mov_b32 s16, 0
	v_mov_b32_e32 v3, v2
	v_readfirstlane_b32 s20, v9
	v_readfirstlane_b32 s21, v10
	s_mov_b32 s17, s16
	s_mov_b32 s18, s16
	;; [unrolled: 1-line block ×3, first 2 shown]
	s_nop 1
	global_store_dwordx4 v50, v[0:3], s[20:21]
	s_nop 0
	v_mov_b32_e32 v0, s16
	v_mov_b32_e32 v1, s17
	;; [unrolled: 1-line block ×4, first 2 shown]
	global_store_dwordx4 v50, v[0:3], s[20:21] offset:16
	global_store_dwordx4 v50, v[0:3], s[20:21] offset:32
	;; [unrolled: 1-line block ×3, first 2 shown]
	s_and_saveexec_b64 s[16:17], s[4:5]
	s_cbranch_execz .LBB3_241
; %bb.234:
	v_mov_b32_e32 v9, 0
	global_load_dwordx2 v[15:16], v9, s[44:45] offset:32 glc
	global_load_dwordx2 v[0:1], v9, s[44:45] offset:40
	v_mov_b32_e32 v13, s10
	v_mov_b32_e32 v14, s11
	s_waitcnt vmcnt(0)
	v_readfirstlane_b32 s18, v0
	v_readfirstlane_b32 s19, v1
	s_and_b64 s[18:19], s[18:19], s[10:11]
	s_mul_i32 s15, s19, 24
	s_mul_hi_u32 s19, s18, 24
	s_mul_i32 s18, s18, 24
	s_add_i32 s15, s19, s15
	v_mov_b32_e32 v0, s15
	v_add_co_u32_e32 v7, vcc, s18, v7
	v_addc_co_u32_e32 v8, vcc, v8, v0, vcc
	global_store_dwordx2 v[7:8], v[15:16], off
	s_waitcnt vmcnt(0)
	global_atomic_cmpswap_x2 v[2:3], v9, v[13:16], s[44:45] offset:32 glc
	s_waitcnt vmcnt(0)
	v_cmp_ne_u64_e32 vcc, v[2:3], v[15:16]
	s_and_saveexec_b64 s[18:19], vcc
	s_cbranch_execz .LBB3_237
; %bb.235:
	s_mov_b64 s[20:21], 0
.LBB3_236:                              ; =>This Inner Loop Header: Depth=1
	s_sleep 1
	global_store_dwordx2 v[7:8], v[2:3], off
	v_mov_b32_e32 v0, s10
	v_mov_b32_e32 v1, s11
	s_waitcnt vmcnt(0)
	global_atomic_cmpswap_x2 v[0:1], v9, v[0:3], s[44:45] offset:32 glc
	s_waitcnt vmcnt(0)
	v_cmp_eq_u64_e32 vcc, v[0:1], v[2:3]
	v_mov_b32_e32 v3, v1
	s_or_b64 s[20:21], vcc, s[20:21]
	v_mov_b32_e32 v2, v0
	s_andn2_b64 exec, exec, s[20:21]
	s_cbranch_execnz .LBB3_236
.LBB3_237:
	s_or_b64 exec, exec, s[18:19]
	v_mov_b32_e32 v3, 0
	global_load_dwordx2 v[0:1], v3, s[44:45] offset:16
	s_mov_b64 s[18:19], exec
	v_mbcnt_lo_u32_b32 v2, s18, 0
	v_mbcnt_hi_u32_b32 v2, s19, v2
	v_cmp_eq_u32_e32 vcc, 0, v2
	s_and_saveexec_b64 s[20:21], vcc
	s_cbranch_execz .LBB3_239
; %bb.238:
	s_bcnt1_i32_b64 s15, s[18:19]
	v_mov_b32_e32 v2, s15
	s_waitcnt vmcnt(0)
	global_atomic_add_x2 v[0:1], v[2:3], off offset:8
.LBB3_239:
	s_or_b64 exec, exec, s[20:21]
	s_waitcnt vmcnt(0)
	global_load_dwordx2 v[2:3], v[0:1], off offset:16
	s_waitcnt vmcnt(0)
	v_cmp_eq_u64_e32 vcc, 0, v[2:3]
	s_cbranch_vccnz .LBB3_241
; %bb.240:
	global_load_dword v0, v[0:1], off offset:24
	v_mov_b32_e32 v1, 0
	s_waitcnt vmcnt(0)
	global_store_dwordx2 v[2:3], v[0:1], off
	v_and_b32_e32 v0, 0xffffff, v0
	v_readfirstlane_b32 m0, v0
	s_sendmsg sendmsg(MSG_INTERRUPT)
.LBB3_241:
	s_or_b64 exec, exec, s[16:17]
	s_branch .LBB3_245
.LBB3_242:                              ;   in Loop: Header=BB3_245 Depth=1
	s_or_b64 exec, exec, s[16:17]
	v_readfirstlane_b32 s15, v0
	s_cmp_eq_u32 s15, 0
	s_cbranch_scc1 .LBB3_244
; %bb.243:                              ;   in Loop: Header=BB3_245 Depth=1
	s_sleep 1
	s_cbranch_execnz .LBB3_245
	s_branch .LBB3_247
.LBB3_244:
	s_branch .LBB3_247
.LBB3_245:                              ; =>This Inner Loop Header: Depth=1
	v_mov_b32_e32 v0, 1
	s_and_saveexec_b64 s[16:17], s[4:5]
	s_cbranch_execz .LBB3_242
; %bb.246:                              ;   in Loop: Header=BB3_245 Depth=1
	global_load_dword v0, v[11:12], off offset:20 glc
	s_waitcnt vmcnt(0)
	buffer_wbinvl1_vol
	v_and_b32_e32 v0, 1, v0
	s_branch .LBB3_242
.LBB3_247:
	s_and_saveexec_b64 s[16:17], s[4:5]
	s_cbranch_execz .LBB3_250
; %bb.248:
	v_mov_b32_e32 v9, 0
	global_load_dwordx2 v[2:3], v9, s[44:45] offset:40
	global_load_dwordx2 v[10:11], v9, s[44:45] offset:24 glc
	global_load_dwordx2 v[7:8], v9, s[44:45]
	v_mov_b32_e32 v1, s11
	s_mov_b64 s[4:5], 0
	s_waitcnt vmcnt(2)
	v_add_co_u32_e32 v12, vcc, 1, v2
	v_addc_co_u32_e32 v13, vcc, 0, v3, vcc
	v_add_co_u32_e32 v0, vcc, s10, v12
	v_addc_co_u32_e32 v1, vcc, v13, v1, vcc
	v_cmp_eq_u64_e32 vcc, 0, v[0:1]
	v_cndmask_b32_e32 v1, v1, v13, vcc
	v_cndmask_b32_e32 v0, v0, v12, vcc
	v_and_b32_e32 v3, v1, v3
	v_and_b32_e32 v2, v0, v2
	v_mul_lo_u32 v3, v3, 24
	v_mul_hi_u32 v12, v2, 24
	v_mul_lo_u32 v13, v2, 24
	s_waitcnt vmcnt(1)
	v_mov_b32_e32 v2, v10
	v_add_u32_e32 v3, v12, v3
	s_waitcnt vmcnt(0)
	v_add_co_u32_e32 v7, vcc, v7, v13
	v_addc_co_u32_e32 v8, vcc, v8, v3, vcc
	global_store_dwordx2 v[7:8], v[10:11], off
	v_mov_b32_e32 v3, v11
	s_waitcnt vmcnt(0)
	global_atomic_cmpswap_x2 v[2:3], v9, v[0:3], s[44:45] offset:24 glc
	s_waitcnt vmcnt(0)
	v_cmp_ne_u64_e32 vcc, v[2:3], v[10:11]
	s_and_b64 exec, exec, vcc
	s_cbranch_execz .LBB3_250
.LBB3_249:                              ; =>This Inner Loop Header: Depth=1
	s_sleep 1
	global_store_dwordx2 v[7:8], v[2:3], off
	s_waitcnt vmcnt(0)
	global_atomic_cmpswap_x2 v[10:11], v9, v[0:3], s[44:45] offset:24 glc
	s_waitcnt vmcnt(0)
	v_cmp_eq_u64_e32 vcc, v[10:11], v[2:3]
	v_mov_b32_e32 v2, v10
	s_or_b64 s[4:5], vcc, s[4:5]
	v_mov_b32_e32 v3, v11
	s_andn2_b64 exec, exec, s[4:5]
	s_cbranch_execnz .LBB3_249
.LBB3_250:
	s_or_b64 exec, exec, s[16:17]
.LBB3_251:
	v_readfirstlane_b32 s4, v51
	v_mov_b32_e32 v9, 0
	v_mov_b32_e32 v10, 0
	v_cmp_eq_u32_e64 s[4:5], s4, v51
	s_and_saveexec_b64 s[10:11], s[4:5]
	s_cbranch_execz .LBB3_257
; %bb.252:
	s_waitcnt vmcnt(0)
	v_mov_b32_e32 v0, 0
	global_load_dwordx2 v[11:12], v0, s[44:45] offset:24 glc
	s_waitcnt vmcnt(0)
	buffer_wbinvl1_vol
	global_load_dwordx2 v[1:2], v0, s[44:45] offset:40
	global_load_dwordx2 v[7:8], v0, s[44:45]
	s_waitcnt vmcnt(1)
	v_and_b32_e32 v1, v1, v11
	v_and_b32_e32 v2, v2, v12
	v_mul_lo_u32 v2, v2, 24
	v_mul_hi_u32 v3, v1, 24
	v_mul_lo_u32 v1, v1, 24
	v_add_u32_e32 v2, v3, v2
	s_waitcnt vmcnt(0)
	v_add_co_u32_e32 v1, vcc, v7, v1
	v_addc_co_u32_e32 v2, vcc, v8, v2, vcc
	global_load_dwordx2 v[9:10], v[1:2], off glc
	s_waitcnt vmcnt(0)
	global_atomic_cmpswap_x2 v[9:10], v0, v[9:12], s[44:45] offset:24 glc
	s_waitcnt vmcnt(0)
	buffer_wbinvl1_vol
	v_cmp_ne_u64_e32 vcc, v[9:10], v[11:12]
	s_and_saveexec_b64 s[16:17], vcc
	s_cbranch_execz .LBB3_256
; %bb.253:
	s_mov_b64 s[18:19], 0
.LBB3_254:                              ; =>This Inner Loop Header: Depth=1
	s_sleep 1
	global_load_dwordx2 v[1:2], v0, s[44:45] offset:40
	global_load_dwordx2 v[7:8], v0, s[44:45]
	v_mov_b32_e32 v12, v10
	v_mov_b32_e32 v11, v9
	s_waitcnt vmcnt(1)
	v_and_b32_e32 v1, v1, v11
	s_waitcnt vmcnt(0)
	v_mad_u64_u32 v[7:8], s[20:21], v1, 24, v[7:8]
	v_and_b32_e32 v2, v2, v12
	v_mov_b32_e32 v1, v8
	v_mad_u64_u32 v[1:2], s[20:21], v2, 24, v[1:2]
	v_mov_b32_e32 v8, v1
	global_load_dwordx2 v[9:10], v[7:8], off glc
	s_waitcnt vmcnt(0)
	global_atomic_cmpswap_x2 v[9:10], v0, v[9:12], s[44:45] offset:24 glc
	s_waitcnt vmcnt(0)
	buffer_wbinvl1_vol
	v_cmp_eq_u64_e32 vcc, v[9:10], v[11:12]
	s_or_b64 s[18:19], vcc, s[18:19]
	s_andn2_b64 exec, exec, s[18:19]
	s_cbranch_execnz .LBB3_254
; %bb.255:
	s_or_b64 exec, exec, s[18:19]
.LBB3_256:
	s_or_b64 exec, exec, s[16:17]
.LBB3_257:
	s_or_b64 exec, exec, s[10:11]
	s_waitcnt vmcnt(0)
	v_mov_b32_e32 v8, 0
	global_load_dwordx2 v[11:12], v8, s[44:45] offset:40
	global_load_dwordx4 v[0:3], v8, s[44:45]
	v_readfirstlane_b32 s10, v9
	v_readfirstlane_b32 s11, v10
	s_mov_b64 s[16:17], exec
	s_waitcnt vmcnt(1)
	v_readfirstlane_b32 s18, v11
	v_readfirstlane_b32 s19, v12
	s_and_b64 s[18:19], s[10:11], s[18:19]
	s_mul_i32 s15, s19, 24
	s_mul_hi_u32 s20, s18, 24
	s_mul_i32 s21, s18, 24
	s_add_i32 s15, s20, s15
	v_mov_b32_e32 v7, s15
	s_waitcnt vmcnt(0)
	v_add_co_u32_e32 v11, vcc, s21, v0
	v_addc_co_u32_e32 v12, vcc, v1, v7, vcc
	s_and_saveexec_b64 s[20:21], s[4:5]
	s_cbranch_execz .LBB3_259
; %bb.258:
	v_mov_b32_e32 v13, s16
	v_mov_b32_e32 v14, s17
	;; [unrolled: 1-line block ×4, first 2 shown]
	global_store_dwordx4 v[11:12], v[13:16], off offset:8
.LBB3_259:
	s_or_b64 exec, exec, s[20:21]
	s_lshl_b64 s[16:17], s[18:19], 12
	v_mov_b32_e32 v7, s17
	v_add_co_u32_e32 v2, vcc, s16, v2
	v_addc_co_u32_e32 v3, vcc, v3, v7, vcc
	s_mov_b32 s16, 0
	v_mov_b32_e32 v7, 33
	v_mov_b32_e32 v9, v8
	;; [unrolled: 1-line block ×3, first 2 shown]
	v_readfirstlane_b32 s20, v2
	v_readfirstlane_b32 s21, v3
	v_add_co_u32_e32 v13, vcc, v2, v50
	s_mov_b32 s17, s16
	s_mov_b32 s18, s16
	;; [unrolled: 1-line block ×3, first 2 shown]
	s_nop 0
	global_store_dwordx4 v50, v[7:10], s[20:21]
	v_addc_co_u32_e32 v14, vcc, 0, v3, vcc
	v_mov_b32_e32 v7, s16
	v_mov_b32_e32 v8, s17
	;; [unrolled: 1-line block ×4, first 2 shown]
	global_store_dwordx4 v50, v[7:10], s[20:21] offset:16
	global_store_dwordx4 v50, v[7:10], s[20:21] offset:32
	;; [unrolled: 1-line block ×3, first 2 shown]
	s_and_saveexec_b64 s[16:17], s[4:5]
	s_cbranch_execz .LBB3_267
; %bb.260:
	v_mov_b32_e32 v9, 0
	global_load_dwordx2 v[17:18], v9, s[44:45] offset:32 glc
	global_load_dwordx2 v[2:3], v9, s[44:45] offset:40
	v_mov_b32_e32 v15, s10
	v_mov_b32_e32 v16, s11
	s_waitcnt vmcnt(0)
	v_readfirstlane_b32 s18, v2
	v_readfirstlane_b32 s19, v3
	s_and_b64 s[18:19], s[18:19], s[10:11]
	s_mul_i32 s15, s19, 24
	s_mul_hi_u32 s19, s18, 24
	s_mul_i32 s18, s18, 24
	s_add_i32 s15, s19, s15
	v_mov_b32_e32 v2, s15
	v_add_co_u32_e32 v7, vcc, s18, v0
	v_addc_co_u32_e32 v8, vcc, v1, v2, vcc
	global_store_dwordx2 v[7:8], v[17:18], off
	s_waitcnt vmcnt(0)
	global_atomic_cmpswap_x2 v[2:3], v9, v[15:18], s[44:45] offset:32 glc
	s_waitcnt vmcnt(0)
	v_cmp_ne_u64_e32 vcc, v[2:3], v[17:18]
	s_and_saveexec_b64 s[18:19], vcc
	s_cbranch_execz .LBB3_263
; %bb.261:
	s_mov_b64 s[20:21], 0
.LBB3_262:                              ; =>This Inner Loop Header: Depth=1
	s_sleep 1
	global_store_dwordx2 v[7:8], v[2:3], off
	v_mov_b32_e32 v0, s10
	v_mov_b32_e32 v1, s11
	s_waitcnt vmcnt(0)
	global_atomic_cmpswap_x2 v[0:1], v9, v[0:3], s[44:45] offset:32 glc
	s_waitcnt vmcnt(0)
	v_cmp_eq_u64_e32 vcc, v[0:1], v[2:3]
	v_mov_b32_e32 v3, v1
	s_or_b64 s[20:21], vcc, s[20:21]
	v_mov_b32_e32 v2, v0
	s_andn2_b64 exec, exec, s[20:21]
	s_cbranch_execnz .LBB3_262
.LBB3_263:
	s_or_b64 exec, exec, s[18:19]
	v_mov_b32_e32 v3, 0
	global_load_dwordx2 v[0:1], v3, s[44:45] offset:16
	s_mov_b64 s[18:19], exec
	v_mbcnt_lo_u32_b32 v2, s18, 0
	v_mbcnt_hi_u32_b32 v2, s19, v2
	v_cmp_eq_u32_e32 vcc, 0, v2
	s_and_saveexec_b64 s[20:21], vcc
	s_cbranch_execz .LBB3_265
; %bb.264:
	s_bcnt1_i32_b64 s15, s[18:19]
	v_mov_b32_e32 v2, s15
	s_waitcnt vmcnt(0)
	global_atomic_add_x2 v[0:1], v[2:3], off offset:8
.LBB3_265:
	s_or_b64 exec, exec, s[20:21]
	s_waitcnt vmcnt(0)
	global_load_dwordx2 v[2:3], v[0:1], off offset:16
	s_waitcnt vmcnt(0)
	v_cmp_eq_u64_e32 vcc, 0, v[2:3]
	s_cbranch_vccnz .LBB3_267
; %bb.266:
	global_load_dword v0, v[0:1], off offset:24
	v_mov_b32_e32 v1, 0
	s_waitcnt vmcnt(0)
	global_store_dwordx2 v[2:3], v[0:1], off
	v_and_b32_e32 v0, 0xffffff, v0
	v_readfirstlane_b32 m0, v0
	s_sendmsg sendmsg(MSG_INTERRUPT)
.LBB3_267:
	s_or_b64 exec, exec, s[16:17]
	s_branch .LBB3_271
.LBB3_268:                              ;   in Loop: Header=BB3_271 Depth=1
	s_or_b64 exec, exec, s[16:17]
	v_readfirstlane_b32 s15, v0
	s_cmp_eq_u32 s15, 0
	s_cbranch_scc1 .LBB3_270
; %bb.269:                              ;   in Loop: Header=BB3_271 Depth=1
	s_sleep 1
	s_cbranch_execnz .LBB3_271
	s_branch .LBB3_273
.LBB3_270:
	s_branch .LBB3_273
.LBB3_271:                              ; =>This Inner Loop Header: Depth=1
	v_mov_b32_e32 v0, 1
	s_and_saveexec_b64 s[16:17], s[4:5]
	s_cbranch_execz .LBB3_268
; %bb.272:                              ;   in Loop: Header=BB3_271 Depth=1
	global_load_dword v0, v[11:12], off offset:20 glc
	s_waitcnt vmcnt(0)
	buffer_wbinvl1_vol
	v_and_b32_e32 v0, 1, v0
	s_branch .LBB3_268
.LBB3_273:
	global_load_dwordx2 v[0:1], v[13:14], off
	s_and_saveexec_b64 s[16:17], s[4:5]
	s_cbranch_execz .LBB3_276
; %bb.274:
	v_mov_b32_e32 v11, 0
	global_load_dwordx2 v[2:3], v11, s[44:45] offset:40
	global_load_dwordx2 v[12:13], v11, s[44:45] offset:24 glc
	global_load_dwordx2 v[14:15], v11, s[44:45]
	v_mov_b32_e32 v8, s11
	s_mov_b64 s[4:5], 0
	s_waitcnt vmcnt(2)
	v_add_co_u32_e32 v9, vcc, 1, v2
	v_addc_co_u32_e32 v10, vcc, 0, v3, vcc
	v_add_co_u32_e32 v7, vcc, s10, v9
	v_addc_co_u32_e32 v8, vcc, v10, v8, vcc
	v_cmp_eq_u64_e32 vcc, 0, v[7:8]
	v_cndmask_b32_e32 v8, v8, v10, vcc
	v_cndmask_b32_e32 v7, v7, v9, vcc
	v_and_b32_e32 v3, v8, v3
	v_and_b32_e32 v2, v7, v2
	v_mul_lo_u32 v3, v3, 24
	v_mul_hi_u32 v10, v2, 24
	v_mul_lo_u32 v2, v2, 24
	s_waitcnt vmcnt(1)
	v_mov_b32_e32 v9, v12
	v_add_u32_e32 v3, v10, v3
	s_waitcnt vmcnt(0)
	v_add_co_u32_e32 v2, vcc, v14, v2
	v_addc_co_u32_e32 v3, vcc, v15, v3, vcc
	global_store_dwordx2 v[2:3], v[12:13], off
	v_mov_b32_e32 v10, v13
	s_waitcnt vmcnt(0)
	global_atomic_cmpswap_x2 v[9:10], v11, v[7:10], s[44:45] offset:24 glc
	s_waitcnt vmcnt(0)
	v_cmp_ne_u64_e32 vcc, v[9:10], v[12:13]
	s_and_b64 exec, exec, vcc
	s_cbranch_execz .LBB3_276
.LBB3_275:                              ; =>This Inner Loop Header: Depth=1
	s_sleep 1
	global_store_dwordx2 v[2:3], v[9:10], off
	s_waitcnt vmcnt(0)
	global_atomic_cmpswap_x2 v[12:13], v11, v[7:10], s[44:45] offset:24 glc
	s_waitcnt vmcnt(0)
	v_cmp_eq_u64_e32 vcc, v[12:13], v[9:10]
	v_mov_b32_e32 v9, v12
	s_or_b64 s[4:5], vcc, s[4:5]
	v_mov_b32_e32 v10, v13
	s_andn2_b64 exec, exec, s[4:5]
	s_cbranch_execnz .LBB3_275
.LBB3_276:
	s_or_b64 exec, exec, s[16:17]
	s_getpc_b64 s[10:11]
	s_add_u32 s10, s10, .str.6@rel32@lo+4
	s_addc_u32 s11, s11, .str.6@rel32@hi+12
	s_cmp_lg_u64 s[10:11], 0
	s_cselect_b64 s[46:47], -1, 0
	s_and_b64 vcc, exec, s[46:47]
	s_cbranch_vccz .LBB3_361
; %bb.277:
	s_waitcnt vmcnt(0)
	v_and_b32_e32 v35, 2, v0
	v_mov_b32_e32 v3, 0
	v_and_b32_e32 v7, -3, v0
	v_mov_b32_e32 v8, v1
	s_mov_b64 s[16:17], 3
	v_mov_b32_e32 v11, 2
	v_mov_b32_e32 v12, 1
	s_branch .LBB3_279
.LBB3_278:                              ;   in Loop: Header=BB3_279 Depth=1
	s_or_b64 exec, exec, s[22:23]
	s_sub_u32 s16, s16, s18
	s_subb_u32 s17, s17, s19
	s_add_u32 s10, s10, s18
	s_addc_u32 s11, s11, s19
	s_cmp_lg_u64 s[16:17], 0
	s_cbranch_scc0 .LBB3_360
.LBB3_279:                              ; =>This Loop Header: Depth=1
                                        ;     Child Loop BB3_282 Depth 2
                                        ;     Child Loop BB3_289 Depth 2
	;; [unrolled: 1-line block ×11, first 2 shown]
	v_cmp_lt_u64_e64 s[4:5], s[16:17], 56
	v_cmp_gt_u64_e64 s[20:21], s[16:17], 7
	s_and_b64 s[4:5], s[4:5], exec
	s_cselect_b32 s19, s17, 0
	s_cselect_b32 s18, s16, 56
	s_and_b64 vcc, exec, s[20:21]
	s_cbranch_vccnz .LBB3_284
; %bb.280:                              ;   in Loop: Header=BB3_279 Depth=1
	v_mov_b32_e32 v15, 0
	s_cmp_eq_u64 s[16:17], 0
	v_mov_b32_e32 v16, 0
	s_mov_b64 s[4:5], 0
	s_cbranch_scc1 .LBB3_283
; %bb.281:                              ;   in Loop: Header=BB3_279 Depth=1
	v_mov_b32_e32 v15, 0
	s_lshl_b64 s[20:21], s[18:19], 3
	s_mov_b64 s[22:23], 0
	v_mov_b32_e32 v16, 0
	s_mov_b64 s[24:25], s[10:11]
.LBB3_282:                              ;   Parent Loop BB3_279 Depth=1
                                        ; =>  This Inner Loop Header: Depth=2
	global_load_ubyte v2, v3, s[24:25]
	s_waitcnt vmcnt(0)
	v_and_b32_e32 v2, 0xffff, v2
	v_lshlrev_b64 v[9:10], s22, v[2:3]
	s_add_u32 s22, s22, 8
	s_addc_u32 s23, s23, 0
	s_add_u32 s24, s24, 1
	s_addc_u32 s25, s25, 0
	v_or_b32_e32 v15, v9, v15
	s_cmp_lg_u32 s20, s22
	v_or_b32_e32 v16, v10, v16
	s_cbranch_scc1 .LBB3_282
.LBB3_283:                              ;   in Loop: Header=BB3_279 Depth=1
	s_mov_b32 s15, 0
	s_andn2_b64 vcc, exec, s[4:5]
	s_mov_b64 s[4:5], s[10:11]
	s_cbranch_vccz .LBB3_285
	s_branch .LBB3_286
.LBB3_284:                              ;   in Loop: Header=BB3_279 Depth=1
                                        ; implicit-def: $vgpr15_vgpr16
                                        ; implicit-def: $sgpr15
	s_mov_b64 s[4:5], s[10:11]
.LBB3_285:                              ;   in Loop: Header=BB3_279 Depth=1
	global_load_dwordx2 v[15:16], v3, s[10:11]
	s_add_i32 s15, s18, -8
	s_add_u32 s4, s10, 8
	s_addc_u32 s5, s11, 0
.LBB3_286:                              ;   in Loop: Header=BB3_279 Depth=1
	s_cmp_gt_u32 s15, 7
	s_cbranch_scc1 .LBB3_290
; %bb.287:                              ;   in Loop: Header=BB3_279 Depth=1
	s_cmp_eq_u32 s15, 0
	s_cbranch_scc1 .LBB3_291
; %bb.288:                              ;   in Loop: Header=BB3_279 Depth=1
	v_mov_b32_e32 v17, 0
	s_mov_b64 s[20:21], 0
	v_mov_b32_e32 v18, 0
	s_mov_b64 s[22:23], 0
.LBB3_289:                              ;   Parent Loop BB3_279 Depth=1
                                        ; =>  This Inner Loop Header: Depth=2
	s_add_u32 s24, s4, s22
	s_addc_u32 s25, s5, s23
	global_load_ubyte v2, v3, s[24:25]
	s_add_u32 s22, s22, 1
	s_addc_u32 s23, s23, 0
	s_waitcnt vmcnt(0)
	v_and_b32_e32 v2, 0xffff, v2
	v_lshlrev_b64 v[9:10], s20, v[2:3]
	s_add_u32 s20, s20, 8
	s_addc_u32 s21, s21, 0
	v_or_b32_e32 v17, v9, v17
	s_cmp_lg_u32 s15, s22
	v_or_b32_e32 v18, v10, v18
	s_cbranch_scc1 .LBB3_289
	s_branch .LBB3_292
.LBB3_290:                              ;   in Loop: Header=BB3_279 Depth=1
                                        ; implicit-def: $vgpr17_vgpr18
                                        ; implicit-def: $sgpr24
	s_branch .LBB3_293
.LBB3_291:                              ;   in Loop: Header=BB3_279 Depth=1
	v_mov_b32_e32 v17, 0
	v_mov_b32_e32 v18, 0
.LBB3_292:                              ;   in Loop: Header=BB3_279 Depth=1
	s_mov_b32 s24, 0
	s_cbranch_execnz .LBB3_294
.LBB3_293:                              ;   in Loop: Header=BB3_279 Depth=1
	global_load_dwordx2 v[17:18], v3, s[4:5]
	s_add_i32 s24, s15, -8
	s_add_u32 s4, s4, 8
	s_addc_u32 s5, s5, 0
.LBB3_294:                              ;   in Loop: Header=BB3_279 Depth=1
	s_cmp_gt_u32 s24, 7
	s_cbranch_scc1 .LBB3_298
; %bb.295:                              ;   in Loop: Header=BB3_279 Depth=1
	s_cmp_eq_u32 s24, 0
	s_cbranch_scc1 .LBB3_299
; %bb.296:                              ;   in Loop: Header=BB3_279 Depth=1
	v_mov_b32_e32 v19, 0
	s_mov_b64 s[20:21], 0
	v_mov_b32_e32 v20, 0
	s_mov_b64 s[22:23], 0
.LBB3_297:                              ;   Parent Loop BB3_279 Depth=1
                                        ; =>  This Inner Loop Header: Depth=2
	s_add_u32 s26, s4, s22
	s_addc_u32 s27, s5, s23
	global_load_ubyte v2, v3, s[26:27]
	s_add_u32 s22, s22, 1
	s_addc_u32 s23, s23, 0
	s_waitcnt vmcnt(0)
	v_and_b32_e32 v2, 0xffff, v2
	v_lshlrev_b64 v[9:10], s20, v[2:3]
	s_add_u32 s20, s20, 8
	s_addc_u32 s21, s21, 0
	v_or_b32_e32 v19, v9, v19
	s_cmp_lg_u32 s24, s22
	v_or_b32_e32 v20, v10, v20
	s_cbranch_scc1 .LBB3_297
	s_branch .LBB3_300
.LBB3_298:                              ;   in Loop: Header=BB3_279 Depth=1
                                        ; implicit-def: $sgpr15
	s_branch .LBB3_301
.LBB3_299:                              ;   in Loop: Header=BB3_279 Depth=1
	v_mov_b32_e32 v19, 0
	v_mov_b32_e32 v20, 0
.LBB3_300:                              ;   in Loop: Header=BB3_279 Depth=1
	s_mov_b32 s15, 0
	s_cbranch_execnz .LBB3_302
.LBB3_301:                              ;   in Loop: Header=BB3_279 Depth=1
	global_load_dwordx2 v[19:20], v3, s[4:5]
	s_add_i32 s15, s24, -8
	s_add_u32 s4, s4, 8
	s_addc_u32 s5, s5, 0
.LBB3_302:                              ;   in Loop: Header=BB3_279 Depth=1
	s_cmp_gt_u32 s15, 7
	s_cbranch_scc1 .LBB3_306
; %bb.303:                              ;   in Loop: Header=BB3_279 Depth=1
	s_cmp_eq_u32 s15, 0
	s_cbranch_scc1 .LBB3_307
; %bb.304:                              ;   in Loop: Header=BB3_279 Depth=1
	v_mov_b32_e32 v21, 0
	s_mov_b64 s[20:21], 0
	v_mov_b32_e32 v22, 0
	s_mov_b64 s[22:23], 0
.LBB3_305:                              ;   Parent Loop BB3_279 Depth=1
                                        ; =>  This Inner Loop Header: Depth=2
	s_add_u32 s24, s4, s22
	s_addc_u32 s25, s5, s23
	global_load_ubyte v2, v3, s[24:25]
	s_add_u32 s22, s22, 1
	s_addc_u32 s23, s23, 0
	s_waitcnt vmcnt(0)
	v_and_b32_e32 v2, 0xffff, v2
	v_lshlrev_b64 v[9:10], s20, v[2:3]
	s_add_u32 s20, s20, 8
	s_addc_u32 s21, s21, 0
	v_or_b32_e32 v21, v9, v21
	s_cmp_lg_u32 s15, s22
	v_or_b32_e32 v22, v10, v22
	s_cbranch_scc1 .LBB3_305
	s_branch .LBB3_308
.LBB3_306:                              ;   in Loop: Header=BB3_279 Depth=1
                                        ; implicit-def: $vgpr21_vgpr22
                                        ; implicit-def: $sgpr24
	s_branch .LBB3_309
.LBB3_307:                              ;   in Loop: Header=BB3_279 Depth=1
	v_mov_b32_e32 v21, 0
	v_mov_b32_e32 v22, 0
.LBB3_308:                              ;   in Loop: Header=BB3_279 Depth=1
	s_mov_b32 s24, 0
	s_cbranch_execnz .LBB3_310
.LBB3_309:                              ;   in Loop: Header=BB3_279 Depth=1
	global_load_dwordx2 v[21:22], v3, s[4:5]
	s_add_i32 s24, s15, -8
	s_add_u32 s4, s4, 8
	s_addc_u32 s5, s5, 0
.LBB3_310:                              ;   in Loop: Header=BB3_279 Depth=1
	s_cmp_gt_u32 s24, 7
	s_cbranch_scc1 .LBB3_314
; %bb.311:                              ;   in Loop: Header=BB3_279 Depth=1
	s_cmp_eq_u32 s24, 0
	s_cbranch_scc1 .LBB3_315
; %bb.312:                              ;   in Loop: Header=BB3_279 Depth=1
	v_mov_b32_e32 v23, 0
	s_mov_b64 s[20:21], 0
	v_mov_b32_e32 v24, 0
	s_mov_b64 s[22:23], 0
.LBB3_313:                              ;   Parent Loop BB3_279 Depth=1
                                        ; =>  This Inner Loop Header: Depth=2
	s_add_u32 s26, s4, s22
	s_addc_u32 s27, s5, s23
	global_load_ubyte v2, v3, s[26:27]
	s_add_u32 s22, s22, 1
	s_addc_u32 s23, s23, 0
	s_waitcnt vmcnt(0)
	v_and_b32_e32 v2, 0xffff, v2
	v_lshlrev_b64 v[9:10], s20, v[2:3]
	s_add_u32 s20, s20, 8
	s_addc_u32 s21, s21, 0
	v_or_b32_e32 v23, v9, v23
	s_cmp_lg_u32 s24, s22
	v_or_b32_e32 v24, v10, v24
	s_cbranch_scc1 .LBB3_313
	s_branch .LBB3_316
.LBB3_314:                              ;   in Loop: Header=BB3_279 Depth=1
                                        ; implicit-def: $sgpr15
	s_branch .LBB3_317
.LBB3_315:                              ;   in Loop: Header=BB3_279 Depth=1
	v_mov_b32_e32 v23, 0
	v_mov_b32_e32 v24, 0
.LBB3_316:                              ;   in Loop: Header=BB3_279 Depth=1
	s_mov_b32 s15, 0
	s_cbranch_execnz .LBB3_318
.LBB3_317:                              ;   in Loop: Header=BB3_279 Depth=1
	global_load_dwordx2 v[23:24], v3, s[4:5]
	s_add_i32 s15, s24, -8
	s_add_u32 s4, s4, 8
	s_addc_u32 s5, s5, 0
.LBB3_318:                              ;   in Loop: Header=BB3_279 Depth=1
	s_cmp_gt_u32 s15, 7
	s_cbranch_scc1 .LBB3_322
; %bb.319:                              ;   in Loop: Header=BB3_279 Depth=1
	s_cmp_eq_u32 s15, 0
	s_cbranch_scc1 .LBB3_323
; %bb.320:                              ;   in Loop: Header=BB3_279 Depth=1
	v_mov_b32_e32 v25, 0
	s_mov_b64 s[20:21], 0
	v_mov_b32_e32 v26, 0
	s_mov_b64 s[22:23], 0
.LBB3_321:                              ;   Parent Loop BB3_279 Depth=1
                                        ; =>  This Inner Loop Header: Depth=2
	s_add_u32 s24, s4, s22
	s_addc_u32 s25, s5, s23
	global_load_ubyte v2, v3, s[24:25]
	s_add_u32 s22, s22, 1
	s_addc_u32 s23, s23, 0
	s_waitcnt vmcnt(0)
	v_and_b32_e32 v2, 0xffff, v2
	v_lshlrev_b64 v[9:10], s20, v[2:3]
	s_add_u32 s20, s20, 8
	s_addc_u32 s21, s21, 0
	v_or_b32_e32 v25, v9, v25
	s_cmp_lg_u32 s15, s22
	v_or_b32_e32 v26, v10, v26
	s_cbranch_scc1 .LBB3_321
	s_branch .LBB3_324
.LBB3_322:                              ;   in Loop: Header=BB3_279 Depth=1
                                        ; implicit-def: $vgpr25_vgpr26
                                        ; implicit-def: $sgpr24
	s_branch .LBB3_325
.LBB3_323:                              ;   in Loop: Header=BB3_279 Depth=1
	v_mov_b32_e32 v25, 0
	v_mov_b32_e32 v26, 0
.LBB3_324:                              ;   in Loop: Header=BB3_279 Depth=1
	s_mov_b32 s24, 0
	s_cbranch_execnz .LBB3_326
.LBB3_325:                              ;   in Loop: Header=BB3_279 Depth=1
	global_load_dwordx2 v[25:26], v3, s[4:5]
	s_add_i32 s24, s15, -8
	s_add_u32 s4, s4, 8
	s_addc_u32 s5, s5, 0
.LBB3_326:                              ;   in Loop: Header=BB3_279 Depth=1
	s_cmp_gt_u32 s24, 7
	s_cbranch_scc1 .LBB3_330
; %bb.327:                              ;   in Loop: Header=BB3_279 Depth=1
	s_cmp_eq_u32 s24, 0
	s_cbranch_scc1 .LBB3_331
; %bb.328:                              ;   in Loop: Header=BB3_279 Depth=1
	v_mov_b32_e32 v27, 0
	s_mov_b64 s[20:21], 0
	v_mov_b32_e32 v28, 0
	s_mov_b64 s[22:23], s[4:5]
.LBB3_329:                              ;   Parent Loop BB3_279 Depth=1
                                        ; =>  This Inner Loop Header: Depth=2
	global_load_ubyte v2, v3, s[22:23]
	s_add_i32 s24, s24, -1
	s_waitcnt vmcnt(0)
	v_and_b32_e32 v2, 0xffff, v2
	v_lshlrev_b64 v[9:10], s20, v[2:3]
	s_add_u32 s20, s20, 8
	s_addc_u32 s21, s21, 0
	s_add_u32 s22, s22, 1
	s_addc_u32 s23, s23, 0
	v_or_b32_e32 v27, v9, v27
	s_cmp_lg_u32 s24, 0
	v_or_b32_e32 v28, v10, v28
	s_cbranch_scc1 .LBB3_329
	s_branch .LBB3_332
.LBB3_330:                              ;   in Loop: Header=BB3_279 Depth=1
	s_branch .LBB3_333
.LBB3_331:                              ;   in Loop: Header=BB3_279 Depth=1
	v_mov_b32_e32 v27, 0
	v_mov_b32_e32 v28, 0
.LBB3_332:                              ;   in Loop: Header=BB3_279 Depth=1
	s_cbranch_execnz .LBB3_334
.LBB3_333:                              ;   in Loop: Header=BB3_279 Depth=1
	global_load_dwordx2 v[27:28], v3, s[4:5]
.LBB3_334:                              ;   in Loop: Header=BB3_279 Depth=1
	v_readfirstlane_b32 s4, v51
	s_waitcnt vmcnt(0)
	v_mov_b32_e32 v9, 0
	v_mov_b32_e32 v10, 0
	v_cmp_eq_u32_e64 s[4:5], s4, v51
	s_and_saveexec_b64 s[20:21], s[4:5]
	s_cbranch_execz .LBB3_340
; %bb.335:                              ;   in Loop: Header=BB3_279 Depth=1
	global_load_dwordx2 v[31:32], v3, s[44:45] offset:24 glc
	s_waitcnt vmcnt(0)
	buffer_wbinvl1_vol
	global_load_dwordx2 v[9:10], v3, s[44:45] offset:40
	global_load_dwordx2 v[13:14], v3, s[44:45]
	s_waitcnt vmcnt(1)
	v_and_b32_e32 v2, v9, v31
	v_and_b32_e32 v9, v10, v32
	v_mul_lo_u32 v9, v9, 24
	v_mul_hi_u32 v10, v2, 24
	v_mul_lo_u32 v2, v2, 24
	v_add_u32_e32 v10, v10, v9
	s_waitcnt vmcnt(0)
	v_add_co_u32_e32 v9, vcc, v13, v2
	v_addc_co_u32_e32 v10, vcc, v14, v10, vcc
	global_load_dwordx2 v[29:30], v[9:10], off glc
	s_waitcnt vmcnt(0)
	global_atomic_cmpswap_x2 v[9:10], v3, v[29:32], s[44:45] offset:24 glc
	s_waitcnt vmcnt(0)
	buffer_wbinvl1_vol
	v_cmp_ne_u64_e32 vcc, v[9:10], v[31:32]
	s_and_saveexec_b64 s[22:23], vcc
	s_cbranch_execz .LBB3_339
; %bb.336:                              ;   in Loop: Header=BB3_279 Depth=1
	s_mov_b64 s[24:25], 0
.LBB3_337:                              ;   Parent Loop BB3_279 Depth=1
                                        ; =>  This Inner Loop Header: Depth=2
	s_sleep 1
	global_load_dwordx2 v[13:14], v3, s[44:45] offset:40
	global_load_dwordx2 v[29:30], v3, s[44:45]
	v_mov_b32_e32 v32, v10
	v_mov_b32_e32 v31, v9
	s_waitcnt vmcnt(1)
	v_and_b32_e32 v2, v13, v31
	s_waitcnt vmcnt(0)
	v_mad_u64_u32 v[9:10], s[26:27], v2, 24, v[29:30]
	v_and_b32_e32 v13, v14, v32
	v_mov_b32_e32 v2, v10
	v_mad_u64_u32 v[13:14], s[26:27], v13, 24, v[2:3]
	v_mov_b32_e32 v10, v13
	global_load_dwordx2 v[29:30], v[9:10], off glc
	s_waitcnt vmcnt(0)
	global_atomic_cmpswap_x2 v[9:10], v3, v[29:32], s[44:45] offset:24 glc
	s_waitcnt vmcnt(0)
	buffer_wbinvl1_vol
	v_cmp_eq_u64_e32 vcc, v[9:10], v[31:32]
	s_or_b64 s[24:25], vcc, s[24:25]
	s_andn2_b64 exec, exec, s[24:25]
	s_cbranch_execnz .LBB3_337
; %bb.338:                              ;   in Loop: Header=BB3_279 Depth=1
	s_or_b64 exec, exec, s[24:25]
.LBB3_339:                              ;   in Loop: Header=BB3_279 Depth=1
	s_or_b64 exec, exec, s[22:23]
.LBB3_340:                              ;   in Loop: Header=BB3_279 Depth=1
	s_or_b64 exec, exec, s[20:21]
	global_load_dwordx2 v[13:14], v3, s[44:45] offset:40
	global_load_dwordx4 v[29:32], v3, s[44:45]
	v_readfirstlane_b32 s20, v9
	v_readfirstlane_b32 s21, v10
	s_mov_b64 s[22:23], exec
	s_waitcnt vmcnt(1)
	v_readfirstlane_b32 s24, v13
	v_readfirstlane_b32 s25, v14
	s_and_b64 s[24:25], s[20:21], s[24:25]
	s_mul_i32 s15, s25, 24
	s_mul_hi_u32 s26, s24, 24
	s_mul_i32 s27, s24, 24
	s_add_i32 s15, s26, s15
	v_mov_b32_e32 v2, s15
	s_waitcnt vmcnt(0)
	v_add_co_u32_e32 v33, vcc, s27, v29
	v_addc_co_u32_e32 v34, vcc, v30, v2, vcc
	s_and_saveexec_b64 s[26:27], s[4:5]
	s_cbranch_execz .LBB3_342
; %bb.341:                              ;   in Loop: Header=BB3_279 Depth=1
	v_mov_b32_e32 v9, s22
	v_mov_b32_e32 v10, s23
	global_store_dwordx4 v[33:34], v[9:12], off offset:8
.LBB3_342:                              ;   in Loop: Header=BB3_279 Depth=1
	s_or_b64 exec, exec, s[26:27]
	s_lshl_b64 s[22:23], s[24:25], 12
	v_mov_b32_e32 v2, s23
	v_add_co_u32_e32 v31, vcc, s22, v31
	v_addc_co_u32_e32 v32, vcc, v32, v2, vcc
	v_cmp_gt_u64_e64 vcc, s[16:17], 56
	v_or_b32_e32 v2, 0, v8
	v_or_b32_e32 v9, v7, v35
	s_lshl_b32 s15, s18, 2
	v_cndmask_b32_e32 v14, v2, v8, vcc
	v_cndmask_b32_e32 v2, v9, v7, vcc
	s_add_i32 s15, s15, 28
	s_and_b32 s15, s15, 0x1e0
	v_and_b32_e32 v2, 0xffffff1f, v2
	v_or_b32_e32 v13, s15, v2
	v_readfirstlane_b32 s22, v31
	v_readfirstlane_b32 s23, v32
	s_nop 4
	global_store_dwordx4 v50, v[13:16], s[22:23]
	global_store_dwordx4 v50, v[17:20], s[22:23] offset:16
	global_store_dwordx4 v50, v[21:24], s[22:23] offset:32
	;; [unrolled: 1-line block ×3, first 2 shown]
	s_and_saveexec_b64 s[22:23], s[4:5]
	s_cbranch_execz .LBB3_350
; %bb.343:                              ;   in Loop: Header=BB3_279 Depth=1
	global_load_dwordx2 v[17:18], v3, s[44:45] offset:32 glc
	global_load_dwordx2 v[7:8], v3, s[44:45] offset:40
	v_mov_b32_e32 v15, s20
	v_mov_b32_e32 v16, s21
	s_waitcnt vmcnt(0)
	v_readfirstlane_b32 s24, v7
	v_readfirstlane_b32 s25, v8
	s_and_b64 s[24:25], s[24:25], s[20:21]
	s_mul_i32 s15, s25, 24
	s_mul_hi_u32 s25, s24, 24
	s_mul_i32 s24, s24, 24
	s_add_i32 s15, s25, s15
	v_mov_b32_e32 v2, s15
	v_add_co_u32_e32 v13, vcc, s24, v29
	v_addc_co_u32_e32 v14, vcc, v30, v2, vcc
	global_store_dwordx2 v[13:14], v[17:18], off
	s_waitcnt vmcnt(0)
	global_atomic_cmpswap_x2 v[9:10], v3, v[15:18], s[44:45] offset:32 glc
	s_waitcnt vmcnt(0)
	v_cmp_ne_u64_e32 vcc, v[9:10], v[17:18]
	s_and_saveexec_b64 s[24:25], vcc
	s_cbranch_execz .LBB3_346
; %bb.344:                              ;   in Loop: Header=BB3_279 Depth=1
	s_mov_b64 s[26:27], 0
.LBB3_345:                              ;   Parent Loop BB3_279 Depth=1
                                        ; =>  This Inner Loop Header: Depth=2
	s_sleep 1
	global_store_dwordx2 v[13:14], v[9:10], off
	v_mov_b32_e32 v7, s20
	v_mov_b32_e32 v8, s21
	s_waitcnt vmcnt(0)
	global_atomic_cmpswap_x2 v[7:8], v3, v[7:10], s[44:45] offset:32 glc
	s_waitcnt vmcnt(0)
	v_cmp_eq_u64_e32 vcc, v[7:8], v[9:10]
	v_mov_b32_e32 v10, v8
	s_or_b64 s[26:27], vcc, s[26:27]
	v_mov_b32_e32 v9, v7
	s_andn2_b64 exec, exec, s[26:27]
	s_cbranch_execnz .LBB3_345
.LBB3_346:                              ;   in Loop: Header=BB3_279 Depth=1
	s_or_b64 exec, exec, s[24:25]
	global_load_dwordx2 v[7:8], v3, s[44:45] offset:16
	s_mov_b64 s[26:27], exec
	v_mbcnt_lo_u32_b32 v2, s26, 0
	v_mbcnt_hi_u32_b32 v2, s27, v2
	v_cmp_eq_u32_e32 vcc, 0, v2
	s_and_saveexec_b64 s[24:25], vcc
	s_cbranch_execz .LBB3_348
; %bb.347:                              ;   in Loop: Header=BB3_279 Depth=1
	s_bcnt1_i32_b64 s15, s[26:27]
	v_mov_b32_e32 v2, s15
	s_waitcnt vmcnt(0)
	global_atomic_add_x2 v[7:8], v[2:3], off offset:8
.LBB3_348:                              ;   in Loop: Header=BB3_279 Depth=1
	s_or_b64 exec, exec, s[24:25]
	s_waitcnt vmcnt(0)
	global_load_dwordx2 v[9:10], v[7:8], off offset:16
	s_waitcnt vmcnt(0)
	v_cmp_eq_u64_e32 vcc, 0, v[9:10]
	s_cbranch_vccnz .LBB3_350
; %bb.349:                              ;   in Loop: Header=BB3_279 Depth=1
	global_load_dword v2, v[7:8], off offset:24
	s_waitcnt vmcnt(0)
	global_store_dwordx2 v[9:10], v[2:3], off
	v_and_b32_e32 v2, 0xffffff, v2
	v_readfirstlane_b32 m0, v2
	s_sendmsg sendmsg(MSG_INTERRUPT)
.LBB3_350:                              ;   in Loop: Header=BB3_279 Depth=1
	s_or_b64 exec, exec, s[22:23]
	v_add_co_u32_e32 v7, vcc, v31, v50
	v_addc_co_u32_e32 v8, vcc, 0, v32, vcc
	s_branch .LBB3_354
.LBB3_351:                              ;   in Loop: Header=BB3_354 Depth=2
	s_or_b64 exec, exec, s[22:23]
	v_readfirstlane_b32 s15, v2
	s_cmp_eq_u32 s15, 0
	s_cbranch_scc1 .LBB3_353
; %bb.352:                              ;   in Loop: Header=BB3_354 Depth=2
	s_sleep 1
	s_cbranch_execnz .LBB3_354
	s_branch .LBB3_356
.LBB3_353:                              ;   in Loop: Header=BB3_279 Depth=1
	s_branch .LBB3_356
.LBB3_354:                              ;   Parent Loop BB3_279 Depth=1
                                        ; =>  This Inner Loop Header: Depth=2
	v_mov_b32_e32 v2, 1
	s_and_saveexec_b64 s[22:23], s[4:5]
	s_cbranch_execz .LBB3_351
; %bb.355:                              ;   in Loop: Header=BB3_354 Depth=2
	global_load_dword v2, v[33:34], off offset:20 glc
	s_waitcnt vmcnt(0)
	buffer_wbinvl1_vol
	v_and_b32_e32 v2, 1, v2
	s_branch .LBB3_351
.LBB3_356:                              ;   in Loop: Header=BB3_279 Depth=1
	global_load_dwordx4 v[7:10], v[7:8], off
	s_and_saveexec_b64 s[22:23], s[4:5]
	s_cbranch_execz .LBB3_278
; %bb.357:                              ;   in Loop: Header=BB3_279 Depth=1
	global_load_dwordx2 v[9:10], v3, s[44:45] offset:40
	global_load_dwordx2 v[17:18], v3, s[44:45] offset:24 glc
	global_load_dwordx2 v[19:20], v3, s[44:45]
	v_mov_b32_e32 v2, s21
	s_waitcnt vmcnt(2)
	v_add_co_u32_e32 v15, vcc, 1, v9
	v_addc_co_u32_e32 v16, vcc, 0, v10, vcc
	v_add_co_u32_e32 v13, vcc, s20, v15
	v_addc_co_u32_e32 v14, vcc, v16, v2, vcc
	v_cmp_eq_u64_e32 vcc, 0, v[13:14]
	v_cndmask_b32_e32 v14, v14, v16, vcc
	v_cndmask_b32_e32 v13, v13, v15, vcc
	v_and_b32_e32 v2, v14, v10
	v_and_b32_e32 v9, v13, v9
	v_mul_lo_u32 v2, v2, 24
	v_mul_hi_u32 v10, v9, 24
	v_mul_lo_u32 v9, v9, 24
	s_waitcnt vmcnt(1)
	v_mov_b32_e32 v15, v17
	v_mov_b32_e32 v16, v18
	v_add_u32_e32 v2, v10, v2
	s_waitcnt vmcnt(0)
	v_add_co_u32_e32 v9, vcc, v19, v9
	v_addc_co_u32_e32 v10, vcc, v20, v2, vcc
	global_store_dwordx2 v[9:10], v[17:18], off
	s_waitcnt vmcnt(0)
	global_atomic_cmpswap_x2 v[15:16], v3, v[13:16], s[44:45] offset:24 glc
	s_waitcnt vmcnt(0)
	v_cmp_ne_u64_e32 vcc, v[15:16], v[17:18]
	s_and_b64 exec, exec, vcc
	s_cbranch_execz .LBB3_278
; %bb.358:                              ;   in Loop: Header=BB3_279 Depth=1
	s_mov_b64 s[4:5], 0
.LBB3_359:                              ;   Parent Loop BB3_279 Depth=1
                                        ; =>  This Inner Loop Header: Depth=2
	s_sleep 1
	global_store_dwordx2 v[9:10], v[15:16], off
	s_waitcnt vmcnt(0)
	global_atomic_cmpswap_x2 v[17:18], v3, v[13:16], s[44:45] offset:24 glc
	s_waitcnt vmcnt(0)
	v_cmp_eq_u64_e32 vcc, v[17:18], v[15:16]
	v_mov_b32_e32 v15, v17
	s_or_b64 s[4:5], vcc, s[4:5]
	v_mov_b32_e32 v16, v18
	s_andn2_b64 exec, exec, s[4:5]
	s_cbranch_execnz .LBB3_359
	s_branch .LBB3_278
.LBB3_360:
	s_branch .LBB3_388
.LBB3_361:
                                        ; implicit-def: $vgpr7_vgpr8
	s_cbranch_execz .LBB3_388
; %bb.362:
	v_readfirstlane_b32 s4, v51
	v_mov_b32_e32 v11, 0
	v_mov_b32_e32 v12, 0
	v_cmp_eq_u32_e64 s[4:5], s4, v51
	s_and_saveexec_b64 s[10:11], s[4:5]
	s_cbranch_execz .LBB3_368
; %bb.363:
	v_mov_b32_e32 v2, 0
	global_load_dwordx2 v[9:10], v2, s[44:45] offset:24 glc
	s_waitcnt vmcnt(0)
	buffer_wbinvl1_vol
	global_load_dwordx2 v[7:8], v2, s[44:45] offset:40
	global_load_dwordx2 v[11:12], v2, s[44:45]
	s_waitcnt vmcnt(1)
	v_and_b32_e32 v3, v7, v9
	v_and_b32_e32 v7, v8, v10
	v_mul_lo_u32 v7, v7, 24
	v_mul_hi_u32 v8, v3, 24
	v_mul_lo_u32 v3, v3, 24
	v_add_u32_e32 v8, v8, v7
	s_waitcnt vmcnt(0)
	v_add_co_u32_e32 v7, vcc, v11, v3
	v_addc_co_u32_e32 v8, vcc, v12, v8, vcc
	global_load_dwordx2 v[7:8], v[7:8], off glc
	s_waitcnt vmcnt(0)
	global_atomic_cmpswap_x2 v[11:12], v2, v[7:10], s[44:45] offset:24 glc
	s_waitcnt vmcnt(0)
	buffer_wbinvl1_vol
	v_cmp_ne_u64_e32 vcc, v[11:12], v[9:10]
	s_and_saveexec_b64 s[16:17], vcc
	s_cbranch_execz .LBB3_367
; %bb.364:
	s_mov_b64 s[18:19], 0
.LBB3_365:                              ; =>This Inner Loop Header: Depth=1
	s_sleep 1
	global_load_dwordx2 v[7:8], v2, s[44:45] offset:40
	global_load_dwordx2 v[13:14], v2, s[44:45]
	v_mov_b32_e32 v9, v11
	v_mov_b32_e32 v10, v12
	s_waitcnt vmcnt(1)
	v_and_b32_e32 v3, v7, v9
	s_waitcnt vmcnt(0)
	v_mad_u64_u32 v[11:12], s[20:21], v3, 24, v[13:14]
	v_and_b32_e32 v7, v8, v10
	v_mov_b32_e32 v3, v12
	v_mad_u64_u32 v[7:8], s[20:21], v7, 24, v[3:4]
	v_mov_b32_e32 v12, v7
	global_load_dwordx2 v[7:8], v[11:12], off glc
	s_waitcnt vmcnt(0)
	global_atomic_cmpswap_x2 v[11:12], v2, v[7:10], s[44:45] offset:24 glc
	s_waitcnt vmcnt(0)
	buffer_wbinvl1_vol
	v_cmp_eq_u64_e32 vcc, v[11:12], v[9:10]
	s_or_b64 s[18:19], vcc, s[18:19]
	s_andn2_b64 exec, exec, s[18:19]
	s_cbranch_execnz .LBB3_365
; %bb.366:
	s_or_b64 exec, exec, s[18:19]
.LBB3_367:
	s_or_b64 exec, exec, s[16:17]
.LBB3_368:
	s_or_b64 exec, exec, s[10:11]
	v_mov_b32_e32 v2, 0
	global_load_dwordx2 v[13:14], v2, s[44:45] offset:40
	global_load_dwordx4 v[7:10], v2, s[44:45]
	v_readfirstlane_b32 s10, v11
	v_readfirstlane_b32 s11, v12
	s_mov_b64 s[16:17], exec
	s_waitcnt vmcnt(1)
	v_readfirstlane_b32 s18, v13
	v_readfirstlane_b32 s19, v14
	s_and_b64 s[18:19], s[10:11], s[18:19]
	s_mul_i32 s15, s19, 24
	s_mul_hi_u32 s20, s18, 24
	s_mul_i32 s21, s18, 24
	s_add_i32 s15, s20, s15
	v_mov_b32_e32 v3, s15
	s_waitcnt vmcnt(0)
	v_add_co_u32_e32 v11, vcc, s21, v7
	v_addc_co_u32_e32 v12, vcc, v8, v3, vcc
	s_and_saveexec_b64 s[20:21], s[4:5]
	s_cbranch_execz .LBB3_370
; %bb.369:
	v_mov_b32_e32 v13, s16
	v_mov_b32_e32 v14, s17
	;; [unrolled: 1-line block ×4, first 2 shown]
	global_store_dwordx4 v[11:12], v[13:16], off offset:8
.LBB3_370:
	s_or_b64 exec, exec, s[20:21]
	s_lshl_b64 s[16:17], s[18:19], 12
	v_mov_b32_e32 v3, s17
	v_add_co_u32_e32 v13, vcc, s16, v9
	v_addc_co_u32_e32 v14, vcc, v10, v3, vcc
	s_movk_i32 s15, 0xff1f
	v_and_or_b32 v0, v0, s15, 32
	s_mov_b32 s16, 0
	v_mov_b32_e32 v3, v2
	v_readfirstlane_b32 s20, v13
	v_readfirstlane_b32 s21, v14
	v_add_co_u32_e32 v9, vcc, v13, v50
	s_mov_b32 s17, s16
	s_mov_b32 s18, s16
	;; [unrolled: 1-line block ×3, first 2 shown]
	s_nop 0
	global_store_dwordx4 v50, v[0:3], s[20:21]
	v_addc_co_u32_e32 v10, vcc, 0, v14, vcc
	v_mov_b32_e32 v0, s16
	v_mov_b32_e32 v1, s17
	;; [unrolled: 1-line block ×4, first 2 shown]
	global_store_dwordx4 v50, v[0:3], s[20:21] offset:16
	global_store_dwordx4 v50, v[0:3], s[20:21] offset:32
	;; [unrolled: 1-line block ×3, first 2 shown]
	s_and_saveexec_b64 s[16:17], s[4:5]
	s_cbranch_execz .LBB3_378
; %bb.371:
	v_mov_b32_e32 v13, 0
	global_load_dwordx2 v[16:17], v13, s[44:45] offset:32 glc
	global_load_dwordx2 v[0:1], v13, s[44:45] offset:40
	v_mov_b32_e32 v14, s10
	v_mov_b32_e32 v15, s11
	s_waitcnt vmcnt(0)
	v_readfirstlane_b32 s18, v0
	v_readfirstlane_b32 s19, v1
	s_and_b64 s[18:19], s[18:19], s[10:11]
	s_mul_i32 s15, s19, 24
	s_mul_hi_u32 s19, s18, 24
	s_mul_i32 s18, s18, 24
	s_add_i32 s15, s19, s15
	v_mov_b32_e32 v0, s15
	v_add_co_u32_e32 v7, vcc, s18, v7
	v_addc_co_u32_e32 v8, vcc, v8, v0, vcc
	global_store_dwordx2 v[7:8], v[16:17], off
	s_waitcnt vmcnt(0)
	global_atomic_cmpswap_x2 v[2:3], v13, v[14:17], s[44:45] offset:32 glc
	s_waitcnt vmcnt(0)
	v_cmp_ne_u64_e32 vcc, v[2:3], v[16:17]
	s_and_saveexec_b64 s[18:19], vcc
	s_cbranch_execz .LBB3_374
; %bb.372:
	s_mov_b64 s[20:21], 0
.LBB3_373:                              ; =>This Inner Loop Header: Depth=1
	s_sleep 1
	global_store_dwordx2 v[7:8], v[2:3], off
	v_mov_b32_e32 v0, s10
	v_mov_b32_e32 v1, s11
	s_waitcnt vmcnt(0)
	global_atomic_cmpswap_x2 v[0:1], v13, v[0:3], s[44:45] offset:32 glc
	s_waitcnt vmcnt(0)
	v_cmp_eq_u64_e32 vcc, v[0:1], v[2:3]
	v_mov_b32_e32 v3, v1
	s_or_b64 s[20:21], vcc, s[20:21]
	v_mov_b32_e32 v2, v0
	s_andn2_b64 exec, exec, s[20:21]
	s_cbranch_execnz .LBB3_373
.LBB3_374:
	s_or_b64 exec, exec, s[18:19]
	v_mov_b32_e32 v3, 0
	global_load_dwordx2 v[0:1], v3, s[44:45] offset:16
	s_mov_b64 s[18:19], exec
	v_mbcnt_lo_u32_b32 v2, s18, 0
	v_mbcnt_hi_u32_b32 v2, s19, v2
	v_cmp_eq_u32_e32 vcc, 0, v2
	s_and_saveexec_b64 s[20:21], vcc
	s_cbranch_execz .LBB3_376
; %bb.375:
	s_bcnt1_i32_b64 s15, s[18:19]
	v_mov_b32_e32 v2, s15
	s_waitcnt vmcnt(0)
	global_atomic_add_x2 v[0:1], v[2:3], off offset:8
.LBB3_376:
	s_or_b64 exec, exec, s[20:21]
	s_waitcnt vmcnt(0)
	global_load_dwordx2 v[2:3], v[0:1], off offset:16
	s_waitcnt vmcnt(0)
	v_cmp_eq_u64_e32 vcc, 0, v[2:3]
	s_cbranch_vccnz .LBB3_378
; %bb.377:
	global_load_dword v0, v[0:1], off offset:24
	v_mov_b32_e32 v1, 0
	s_waitcnt vmcnt(0)
	global_store_dwordx2 v[2:3], v[0:1], off
	v_and_b32_e32 v0, 0xffffff, v0
	v_readfirstlane_b32 m0, v0
	s_sendmsg sendmsg(MSG_INTERRUPT)
.LBB3_378:
	s_or_b64 exec, exec, s[16:17]
	s_branch .LBB3_382
.LBB3_379:                              ;   in Loop: Header=BB3_382 Depth=1
	s_or_b64 exec, exec, s[16:17]
	v_readfirstlane_b32 s15, v0
	s_cmp_eq_u32 s15, 0
	s_cbranch_scc1 .LBB3_381
; %bb.380:                              ;   in Loop: Header=BB3_382 Depth=1
	s_sleep 1
	s_cbranch_execnz .LBB3_382
	s_branch .LBB3_384
.LBB3_381:
	s_branch .LBB3_384
.LBB3_382:                              ; =>This Inner Loop Header: Depth=1
	v_mov_b32_e32 v0, 1
	s_and_saveexec_b64 s[16:17], s[4:5]
	s_cbranch_execz .LBB3_379
; %bb.383:                              ;   in Loop: Header=BB3_382 Depth=1
	global_load_dword v0, v[11:12], off offset:20 glc
	s_waitcnt vmcnt(0)
	buffer_wbinvl1_vol
	v_and_b32_e32 v0, 1, v0
	s_branch .LBB3_379
.LBB3_384:
	global_load_dwordx2 v[7:8], v[9:10], off
	s_and_saveexec_b64 s[16:17], s[4:5]
	s_cbranch_execz .LBB3_387
; %bb.385:
	v_mov_b32_e32 v11, 0
	global_load_dwordx2 v[2:3], v11, s[44:45] offset:40
	global_load_dwordx2 v[12:13], v11, s[44:45] offset:24 glc
	global_load_dwordx2 v[9:10], v11, s[44:45]
	v_mov_b32_e32 v1, s11
	s_mov_b64 s[4:5], 0
	s_waitcnt vmcnt(2)
	v_add_co_u32_e32 v14, vcc, 1, v2
	v_addc_co_u32_e32 v15, vcc, 0, v3, vcc
	v_add_co_u32_e32 v0, vcc, s10, v14
	v_addc_co_u32_e32 v1, vcc, v15, v1, vcc
	v_cmp_eq_u64_e32 vcc, 0, v[0:1]
	v_cndmask_b32_e32 v1, v1, v15, vcc
	v_cndmask_b32_e32 v0, v0, v14, vcc
	v_and_b32_e32 v3, v1, v3
	v_and_b32_e32 v2, v0, v2
	v_mul_lo_u32 v3, v3, 24
	v_mul_hi_u32 v14, v2, 24
	v_mul_lo_u32 v15, v2, 24
	s_waitcnt vmcnt(1)
	v_mov_b32_e32 v2, v12
	v_add_u32_e32 v3, v14, v3
	s_waitcnt vmcnt(0)
	v_add_co_u32_e32 v9, vcc, v9, v15
	v_addc_co_u32_e32 v10, vcc, v10, v3, vcc
	global_store_dwordx2 v[9:10], v[12:13], off
	v_mov_b32_e32 v3, v13
	s_waitcnt vmcnt(0)
	global_atomic_cmpswap_x2 v[2:3], v11, v[0:3], s[44:45] offset:24 glc
	s_waitcnt vmcnt(0)
	v_cmp_ne_u64_e32 vcc, v[2:3], v[12:13]
	s_and_b64 exec, exec, vcc
	s_cbranch_execz .LBB3_387
.LBB3_386:                              ; =>This Inner Loop Header: Depth=1
	s_sleep 1
	global_store_dwordx2 v[9:10], v[2:3], off
	s_waitcnt vmcnt(0)
	global_atomic_cmpswap_x2 v[12:13], v11, v[0:3], s[44:45] offset:24 glc
	s_waitcnt vmcnt(0)
	v_cmp_eq_u64_e32 vcc, v[12:13], v[2:3]
	v_mov_b32_e32 v2, v12
	s_or_b64 s[4:5], vcc, s[4:5]
	v_mov_b32_e32 v3, v13
	s_andn2_b64 exec, exec, s[4:5]
	s_cbranch_execnz .LBB3_386
.LBB3_387:
	s_or_b64 exec, exec, s[16:17]
.LBB3_388:
	v_readfirstlane_b32 s4, v51
	v_mov_b32_e32 v11, 0
	v_mov_b32_e32 v12, 0
	v_cmp_eq_u32_e64 s[4:5], s4, v51
	s_and_saveexec_b64 s[10:11], s[4:5]
	s_cbranch_execz .LBB3_394
; %bb.389:
	s_waitcnt vmcnt(0)
	v_mov_b32_e32 v0, 0
	global_load_dwordx2 v[13:14], v0, s[44:45] offset:24 glc
	s_waitcnt vmcnt(0)
	buffer_wbinvl1_vol
	global_load_dwordx2 v[1:2], v0, s[44:45] offset:40
	global_load_dwordx2 v[9:10], v0, s[44:45]
	s_waitcnt vmcnt(1)
	v_and_b32_e32 v1, v1, v13
	v_and_b32_e32 v2, v2, v14
	v_mul_lo_u32 v2, v2, 24
	v_mul_hi_u32 v3, v1, 24
	v_mul_lo_u32 v1, v1, 24
	v_add_u32_e32 v2, v3, v2
	s_waitcnt vmcnt(0)
	v_add_co_u32_e32 v1, vcc, v9, v1
	v_addc_co_u32_e32 v2, vcc, v10, v2, vcc
	global_load_dwordx2 v[11:12], v[1:2], off glc
	s_waitcnt vmcnt(0)
	global_atomic_cmpswap_x2 v[11:12], v0, v[11:14], s[44:45] offset:24 glc
	s_waitcnt vmcnt(0)
	buffer_wbinvl1_vol
	v_cmp_ne_u64_e32 vcc, v[11:12], v[13:14]
	s_and_saveexec_b64 s[16:17], vcc
	s_cbranch_execz .LBB3_393
; %bb.390:
	s_mov_b64 s[18:19], 0
.LBB3_391:                              ; =>This Inner Loop Header: Depth=1
	s_sleep 1
	global_load_dwordx2 v[1:2], v0, s[44:45] offset:40
	global_load_dwordx2 v[9:10], v0, s[44:45]
	v_mov_b32_e32 v14, v12
	v_mov_b32_e32 v13, v11
	s_waitcnt vmcnt(1)
	v_and_b32_e32 v1, v1, v13
	s_waitcnt vmcnt(0)
	v_mad_u64_u32 v[9:10], s[20:21], v1, 24, v[9:10]
	v_and_b32_e32 v2, v2, v14
	v_mov_b32_e32 v1, v10
	v_mad_u64_u32 v[1:2], s[20:21], v2, 24, v[1:2]
	v_mov_b32_e32 v10, v1
	global_load_dwordx2 v[11:12], v[9:10], off glc
	s_waitcnt vmcnt(0)
	global_atomic_cmpswap_x2 v[11:12], v0, v[11:14], s[44:45] offset:24 glc
	s_waitcnt vmcnt(0)
	buffer_wbinvl1_vol
	v_cmp_eq_u64_e32 vcc, v[11:12], v[13:14]
	s_or_b64 s[18:19], vcc, s[18:19]
	s_andn2_b64 exec, exec, s[18:19]
	s_cbranch_execnz .LBB3_391
; %bb.392:
	s_or_b64 exec, exec, s[18:19]
.LBB3_393:
	s_or_b64 exec, exec, s[16:17]
.LBB3_394:
	s_or_b64 exec, exec, s[10:11]
	s_waitcnt vmcnt(0)
	v_mov_b32_e32 v10, 0
	global_load_dwordx2 v[13:14], v10, s[44:45] offset:40
	global_load_dwordx4 v[0:3], v10, s[44:45]
	v_readfirstlane_b32 s10, v11
	v_readfirstlane_b32 s11, v12
	s_mov_b64 s[16:17], exec
	s_waitcnt vmcnt(1)
	v_readfirstlane_b32 s18, v13
	v_readfirstlane_b32 s19, v14
	s_and_b64 s[18:19], s[10:11], s[18:19]
	s_mul_i32 s15, s19, 24
	s_mul_hi_u32 s20, s18, 24
	s_mul_i32 s21, s18, 24
	s_add_i32 s15, s20, s15
	v_mov_b32_e32 v9, s15
	s_waitcnt vmcnt(0)
	v_add_co_u32_e32 v11, vcc, s21, v0
	v_addc_co_u32_e32 v12, vcc, v1, v9, vcc
	s_and_saveexec_b64 s[20:21], s[4:5]
	s_cbranch_execz .LBB3_396
; %bb.395:
	v_mov_b32_e32 v13, s16
	v_mov_b32_e32 v14, s17
	;; [unrolled: 1-line block ×4, first 2 shown]
	global_store_dwordx4 v[11:12], v[13:16], off offset:8
.LBB3_396:
	s_or_b64 exec, exec, s[20:21]
	s_lshl_b64 s[16:17], s[18:19], 12
	v_mov_b32_e32 v9, s17
	v_add_co_u32_e32 v2, vcc, s16, v2
	v_addc_co_u32_e32 v3, vcc, v3, v9, vcc
	s_movk_i32 s15, 0xff1d
	v_and_or_b32 v7, v7, s15, 34
	s_mov_b32 s16, 0
	v_mov_b32_e32 v9, 10
	v_readfirstlane_b32 s20, v2
	v_readfirstlane_b32 s21, v3
	s_mov_b32 s17, s16
	s_mov_b32 s18, s16
	;; [unrolled: 1-line block ×3, first 2 shown]
	s_nop 1
	global_store_dwordx4 v50, v[7:10], s[20:21]
	s_nop 0
	v_mov_b32_e32 v7, s16
	v_mov_b32_e32 v8, s17
	;; [unrolled: 1-line block ×4, first 2 shown]
	global_store_dwordx4 v50, v[7:10], s[20:21] offset:16
	global_store_dwordx4 v50, v[7:10], s[20:21] offset:32
	;; [unrolled: 1-line block ×3, first 2 shown]
	s_and_saveexec_b64 s[16:17], s[4:5]
	s_cbranch_execz .LBB3_404
; %bb.397:
	v_mov_b32_e32 v9, 0
	global_load_dwordx2 v[15:16], v9, s[44:45] offset:32 glc
	global_load_dwordx2 v[2:3], v9, s[44:45] offset:40
	v_mov_b32_e32 v13, s10
	v_mov_b32_e32 v14, s11
	s_waitcnt vmcnt(0)
	v_readfirstlane_b32 s18, v2
	v_readfirstlane_b32 s19, v3
	s_and_b64 s[18:19], s[18:19], s[10:11]
	s_mul_i32 s15, s19, 24
	s_mul_hi_u32 s19, s18, 24
	s_mul_i32 s18, s18, 24
	s_add_i32 s15, s19, s15
	v_mov_b32_e32 v2, s15
	v_add_co_u32_e32 v7, vcc, s18, v0
	v_addc_co_u32_e32 v8, vcc, v1, v2, vcc
	global_store_dwordx2 v[7:8], v[15:16], off
	s_waitcnt vmcnt(0)
	global_atomic_cmpswap_x2 v[2:3], v9, v[13:16], s[44:45] offset:32 glc
	s_waitcnt vmcnt(0)
	v_cmp_ne_u64_e32 vcc, v[2:3], v[15:16]
	s_and_saveexec_b64 s[18:19], vcc
	s_cbranch_execz .LBB3_400
; %bb.398:
	s_mov_b64 s[20:21], 0
.LBB3_399:                              ; =>This Inner Loop Header: Depth=1
	s_sleep 1
	global_store_dwordx2 v[7:8], v[2:3], off
	v_mov_b32_e32 v0, s10
	v_mov_b32_e32 v1, s11
	s_waitcnt vmcnt(0)
	global_atomic_cmpswap_x2 v[0:1], v9, v[0:3], s[44:45] offset:32 glc
	s_waitcnt vmcnt(0)
	v_cmp_eq_u64_e32 vcc, v[0:1], v[2:3]
	v_mov_b32_e32 v3, v1
	s_or_b64 s[20:21], vcc, s[20:21]
	v_mov_b32_e32 v2, v0
	s_andn2_b64 exec, exec, s[20:21]
	s_cbranch_execnz .LBB3_399
.LBB3_400:
	s_or_b64 exec, exec, s[18:19]
	v_mov_b32_e32 v3, 0
	global_load_dwordx2 v[0:1], v3, s[44:45] offset:16
	s_mov_b64 s[18:19], exec
	v_mbcnt_lo_u32_b32 v2, s18, 0
	v_mbcnt_hi_u32_b32 v2, s19, v2
	v_cmp_eq_u32_e32 vcc, 0, v2
	s_and_saveexec_b64 s[20:21], vcc
	s_cbranch_execz .LBB3_402
; %bb.401:
	s_bcnt1_i32_b64 s15, s[18:19]
	v_mov_b32_e32 v2, s15
	s_waitcnt vmcnt(0)
	global_atomic_add_x2 v[0:1], v[2:3], off offset:8
.LBB3_402:
	s_or_b64 exec, exec, s[20:21]
	s_waitcnt vmcnt(0)
	global_load_dwordx2 v[2:3], v[0:1], off offset:16
	s_waitcnt vmcnt(0)
	v_cmp_eq_u64_e32 vcc, 0, v[2:3]
	s_cbranch_vccnz .LBB3_404
; %bb.403:
	global_load_dword v0, v[0:1], off offset:24
	v_mov_b32_e32 v1, 0
	s_waitcnt vmcnt(0)
	global_store_dwordx2 v[2:3], v[0:1], off
	v_and_b32_e32 v0, 0xffffff, v0
	v_readfirstlane_b32 m0, v0
	s_sendmsg sendmsg(MSG_INTERRUPT)
.LBB3_404:
	s_or_b64 exec, exec, s[16:17]
	s_branch .LBB3_408
.LBB3_405:                              ;   in Loop: Header=BB3_408 Depth=1
	s_or_b64 exec, exec, s[16:17]
	v_readfirstlane_b32 s15, v0
	s_cmp_eq_u32 s15, 0
	s_cbranch_scc1 .LBB3_407
; %bb.406:                              ;   in Loop: Header=BB3_408 Depth=1
	s_sleep 1
	s_cbranch_execnz .LBB3_408
	s_branch .LBB3_410
.LBB3_407:
	s_branch .LBB3_410
.LBB3_408:                              ; =>This Inner Loop Header: Depth=1
	v_mov_b32_e32 v0, 1
	s_and_saveexec_b64 s[16:17], s[4:5]
	s_cbranch_execz .LBB3_405
; %bb.409:                              ;   in Loop: Header=BB3_408 Depth=1
	global_load_dword v0, v[11:12], off offset:20 glc
	s_waitcnt vmcnt(0)
	buffer_wbinvl1_vol
	v_and_b32_e32 v0, 1, v0
	s_branch .LBB3_405
.LBB3_410:
	s_and_saveexec_b64 s[16:17], s[4:5]
	s_cbranch_execz .LBB3_413
; %bb.411:
	v_mov_b32_e32 v9, 0
	global_load_dwordx2 v[2:3], v9, s[44:45] offset:40
	global_load_dwordx2 v[10:11], v9, s[44:45] offset:24 glc
	global_load_dwordx2 v[7:8], v9, s[44:45]
	v_mov_b32_e32 v1, s11
	s_mov_b64 s[4:5], 0
	s_waitcnt vmcnt(2)
	v_add_co_u32_e32 v12, vcc, 1, v2
	v_addc_co_u32_e32 v13, vcc, 0, v3, vcc
	v_add_co_u32_e32 v0, vcc, s10, v12
	v_addc_co_u32_e32 v1, vcc, v13, v1, vcc
	v_cmp_eq_u64_e32 vcc, 0, v[0:1]
	v_cndmask_b32_e32 v1, v1, v13, vcc
	v_cndmask_b32_e32 v0, v0, v12, vcc
	v_and_b32_e32 v3, v1, v3
	v_and_b32_e32 v2, v0, v2
	v_mul_lo_u32 v3, v3, 24
	v_mul_hi_u32 v12, v2, 24
	v_mul_lo_u32 v13, v2, 24
	s_waitcnt vmcnt(1)
	v_mov_b32_e32 v2, v10
	v_add_u32_e32 v3, v12, v3
	s_waitcnt vmcnt(0)
	v_add_co_u32_e32 v7, vcc, v7, v13
	v_addc_co_u32_e32 v8, vcc, v8, v3, vcc
	global_store_dwordx2 v[7:8], v[10:11], off
	v_mov_b32_e32 v3, v11
	s_waitcnt vmcnt(0)
	global_atomic_cmpswap_x2 v[2:3], v9, v[0:3], s[44:45] offset:24 glc
	s_waitcnt vmcnt(0)
	v_cmp_ne_u64_e32 vcc, v[2:3], v[10:11]
	s_and_b64 exec, exec, vcc
	s_cbranch_execz .LBB3_413
.LBB3_412:                              ; =>This Inner Loop Header: Depth=1
	s_sleep 1
	global_store_dwordx2 v[7:8], v[2:3], off
	s_waitcnt vmcnt(0)
	global_atomic_cmpswap_x2 v[10:11], v9, v[0:3], s[44:45] offset:24 glc
	s_waitcnt vmcnt(0)
	v_cmp_eq_u64_e32 vcc, v[10:11], v[2:3]
	v_mov_b32_e32 v2, v10
	s_or_b64 s[4:5], vcc, s[4:5]
	v_mov_b32_e32 v3, v11
	s_andn2_b64 exec, exec, s[4:5]
	s_cbranch_execnz .LBB3_412
.LBB3_413:
	s_or_b64 exec, exec, s[16:17]
	v_readfirstlane_b32 s4, v51
	v_mov_b32_e32 v9, 0
	v_mov_b32_e32 v10, 0
	v_cmp_eq_u32_e64 s[4:5], s4, v51
	s_and_saveexec_b64 s[10:11], s[4:5]
	s_cbranch_execz .LBB3_419
; %bb.414:
	v_mov_b32_e32 v0, 0
	global_load_dwordx2 v[11:12], v0, s[44:45] offset:24 glc
	s_waitcnt vmcnt(0)
	buffer_wbinvl1_vol
	global_load_dwordx2 v[1:2], v0, s[44:45] offset:40
	global_load_dwordx2 v[7:8], v0, s[44:45]
	s_waitcnt vmcnt(1)
	v_and_b32_e32 v1, v1, v11
	v_and_b32_e32 v2, v2, v12
	v_mul_lo_u32 v2, v2, 24
	v_mul_hi_u32 v3, v1, 24
	v_mul_lo_u32 v1, v1, 24
	v_add_u32_e32 v2, v3, v2
	s_waitcnt vmcnt(0)
	v_add_co_u32_e32 v1, vcc, v7, v1
	v_addc_co_u32_e32 v2, vcc, v8, v2, vcc
	global_load_dwordx2 v[9:10], v[1:2], off glc
	s_waitcnt vmcnt(0)
	global_atomic_cmpswap_x2 v[9:10], v0, v[9:12], s[44:45] offset:24 glc
	s_waitcnt vmcnt(0)
	buffer_wbinvl1_vol
	v_cmp_ne_u64_e32 vcc, v[9:10], v[11:12]
	s_and_saveexec_b64 s[16:17], vcc
	s_cbranch_execz .LBB3_418
; %bb.415:
	s_mov_b64 s[18:19], 0
.LBB3_416:                              ; =>This Inner Loop Header: Depth=1
	s_sleep 1
	global_load_dwordx2 v[1:2], v0, s[44:45] offset:40
	global_load_dwordx2 v[7:8], v0, s[44:45]
	v_mov_b32_e32 v12, v10
	v_mov_b32_e32 v11, v9
	s_waitcnt vmcnt(1)
	v_and_b32_e32 v1, v1, v11
	s_waitcnt vmcnt(0)
	v_mad_u64_u32 v[7:8], s[20:21], v1, 24, v[7:8]
	v_and_b32_e32 v2, v2, v12
	v_mov_b32_e32 v1, v8
	v_mad_u64_u32 v[1:2], s[20:21], v2, 24, v[1:2]
	v_mov_b32_e32 v8, v1
	global_load_dwordx2 v[9:10], v[7:8], off glc
	s_waitcnt vmcnt(0)
	global_atomic_cmpswap_x2 v[9:10], v0, v[9:12], s[44:45] offset:24 glc
	s_waitcnt vmcnt(0)
	buffer_wbinvl1_vol
	v_cmp_eq_u64_e32 vcc, v[9:10], v[11:12]
	s_or_b64 s[18:19], vcc, s[18:19]
	s_andn2_b64 exec, exec, s[18:19]
	s_cbranch_execnz .LBB3_416
; %bb.417:
	s_or_b64 exec, exec, s[18:19]
.LBB3_418:
	s_or_b64 exec, exec, s[16:17]
.LBB3_419:
	s_or_b64 exec, exec, s[10:11]
	v_mov_b32_e32 v8, 0
	global_load_dwordx2 v[11:12], v8, s[44:45] offset:40
	global_load_dwordx4 v[0:3], v8, s[44:45]
	v_readfirstlane_b32 s10, v9
	v_readfirstlane_b32 s11, v10
	s_mov_b64 s[16:17], exec
	s_waitcnt vmcnt(1)
	v_readfirstlane_b32 s18, v11
	v_readfirstlane_b32 s19, v12
	s_and_b64 s[18:19], s[10:11], s[18:19]
	s_mul_i32 s15, s19, 24
	s_mul_hi_u32 s20, s18, 24
	s_mul_i32 s21, s18, 24
	s_add_i32 s15, s20, s15
	v_mov_b32_e32 v7, s15
	s_waitcnt vmcnt(0)
	v_add_co_u32_e32 v11, vcc, s21, v0
	v_addc_co_u32_e32 v12, vcc, v1, v7, vcc
	s_and_saveexec_b64 s[20:21], s[4:5]
	s_cbranch_execz .LBB3_421
; %bb.420:
	v_mov_b32_e32 v13, s16
	v_mov_b32_e32 v14, s17
	;; [unrolled: 1-line block ×4, first 2 shown]
	global_store_dwordx4 v[11:12], v[13:16], off offset:8
.LBB3_421:
	s_or_b64 exec, exec, s[20:21]
	s_lshl_b64 s[16:17], s[18:19], 12
	v_mov_b32_e32 v7, s17
	v_add_co_u32_e32 v2, vcc, s16, v2
	v_addc_co_u32_e32 v3, vcc, v3, v7, vcc
	s_mov_b32 s16, 0
	v_mov_b32_e32 v7, 33
	v_mov_b32_e32 v9, v8
	;; [unrolled: 1-line block ×3, first 2 shown]
	v_readfirstlane_b32 s20, v2
	v_readfirstlane_b32 s21, v3
	v_add_co_u32_e32 v13, vcc, v2, v50
	s_mov_b32 s17, s16
	s_mov_b32 s18, s16
	s_mov_b32 s19, s16
	s_nop 0
	global_store_dwordx4 v50, v[7:10], s[20:21]
	v_addc_co_u32_e32 v14, vcc, 0, v3, vcc
	v_mov_b32_e32 v7, s16
	v_mov_b32_e32 v8, s17
	;; [unrolled: 1-line block ×4, first 2 shown]
	global_store_dwordx4 v50, v[7:10], s[20:21] offset:16
	global_store_dwordx4 v50, v[7:10], s[20:21] offset:32
	;; [unrolled: 1-line block ×3, first 2 shown]
	s_and_saveexec_b64 s[16:17], s[4:5]
	s_cbranch_execz .LBB3_429
; %bb.422:
	v_mov_b32_e32 v9, 0
	global_load_dwordx2 v[17:18], v9, s[44:45] offset:32 glc
	global_load_dwordx2 v[2:3], v9, s[44:45] offset:40
	v_mov_b32_e32 v15, s10
	v_mov_b32_e32 v16, s11
	s_waitcnt vmcnt(0)
	v_readfirstlane_b32 s18, v2
	v_readfirstlane_b32 s19, v3
	s_and_b64 s[18:19], s[18:19], s[10:11]
	s_mul_i32 s15, s19, 24
	s_mul_hi_u32 s19, s18, 24
	s_mul_i32 s18, s18, 24
	s_add_i32 s15, s19, s15
	v_mov_b32_e32 v2, s15
	v_add_co_u32_e32 v7, vcc, s18, v0
	v_addc_co_u32_e32 v8, vcc, v1, v2, vcc
	global_store_dwordx2 v[7:8], v[17:18], off
	s_waitcnt vmcnt(0)
	global_atomic_cmpswap_x2 v[2:3], v9, v[15:18], s[44:45] offset:32 glc
	s_waitcnt vmcnt(0)
	v_cmp_ne_u64_e32 vcc, v[2:3], v[17:18]
	s_and_saveexec_b64 s[18:19], vcc
	s_cbranch_execz .LBB3_425
; %bb.423:
	s_mov_b64 s[20:21], 0
.LBB3_424:                              ; =>This Inner Loop Header: Depth=1
	s_sleep 1
	global_store_dwordx2 v[7:8], v[2:3], off
	v_mov_b32_e32 v0, s10
	v_mov_b32_e32 v1, s11
	s_waitcnt vmcnt(0)
	global_atomic_cmpswap_x2 v[0:1], v9, v[0:3], s[44:45] offset:32 glc
	s_waitcnt vmcnt(0)
	v_cmp_eq_u64_e32 vcc, v[0:1], v[2:3]
	v_mov_b32_e32 v3, v1
	s_or_b64 s[20:21], vcc, s[20:21]
	v_mov_b32_e32 v2, v0
	s_andn2_b64 exec, exec, s[20:21]
	s_cbranch_execnz .LBB3_424
.LBB3_425:
	s_or_b64 exec, exec, s[18:19]
	v_mov_b32_e32 v3, 0
	global_load_dwordx2 v[0:1], v3, s[44:45] offset:16
	s_mov_b64 s[18:19], exec
	v_mbcnt_lo_u32_b32 v2, s18, 0
	v_mbcnt_hi_u32_b32 v2, s19, v2
	v_cmp_eq_u32_e32 vcc, 0, v2
	s_and_saveexec_b64 s[20:21], vcc
	s_cbranch_execz .LBB3_427
; %bb.426:
	s_bcnt1_i32_b64 s15, s[18:19]
	v_mov_b32_e32 v2, s15
	s_waitcnt vmcnt(0)
	global_atomic_add_x2 v[0:1], v[2:3], off offset:8
.LBB3_427:
	s_or_b64 exec, exec, s[20:21]
	s_waitcnt vmcnt(0)
	global_load_dwordx2 v[2:3], v[0:1], off offset:16
	s_waitcnt vmcnt(0)
	v_cmp_eq_u64_e32 vcc, 0, v[2:3]
	s_cbranch_vccnz .LBB3_429
; %bb.428:
	global_load_dword v0, v[0:1], off offset:24
	v_mov_b32_e32 v1, 0
	s_waitcnt vmcnt(0)
	global_store_dwordx2 v[2:3], v[0:1], off
	v_and_b32_e32 v0, 0xffffff, v0
	v_readfirstlane_b32 m0, v0
	s_sendmsg sendmsg(MSG_INTERRUPT)
.LBB3_429:
	s_or_b64 exec, exec, s[16:17]
	s_branch .LBB3_433
.LBB3_430:                              ;   in Loop: Header=BB3_433 Depth=1
	s_or_b64 exec, exec, s[16:17]
	v_readfirstlane_b32 s15, v0
	s_cmp_eq_u32 s15, 0
	s_cbranch_scc1 .LBB3_432
; %bb.431:                              ;   in Loop: Header=BB3_433 Depth=1
	s_sleep 1
	s_cbranch_execnz .LBB3_433
	s_branch .LBB3_435
.LBB3_432:
	s_branch .LBB3_435
.LBB3_433:                              ; =>This Inner Loop Header: Depth=1
	v_mov_b32_e32 v0, 1
	s_and_saveexec_b64 s[16:17], s[4:5]
	s_cbranch_execz .LBB3_430
; %bb.434:                              ;   in Loop: Header=BB3_433 Depth=1
	global_load_dword v0, v[11:12], off offset:20 glc
	s_waitcnt vmcnt(0)
	buffer_wbinvl1_vol
	v_and_b32_e32 v0, 1, v0
	s_branch .LBB3_430
.LBB3_435:
	global_load_dwordx2 v[7:8], v[13:14], off
	s_and_saveexec_b64 s[16:17], s[4:5]
	s_cbranch_execz .LBB3_438
; %bb.436:
	v_mov_b32_e32 v11, 0
	global_load_dwordx2 v[2:3], v11, s[44:45] offset:40
	global_load_dwordx2 v[12:13], v11, s[44:45] offset:24 glc
	global_load_dwordx2 v[9:10], v11, s[44:45]
	v_mov_b32_e32 v1, s11
	s_mov_b64 s[4:5], 0
	s_waitcnt vmcnt(2)
	v_add_co_u32_e32 v14, vcc, 1, v2
	v_addc_co_u32_e32 v15, vcc, 0, v3, vcc
	v_add_co_u32_e32 v0, vcc, s10, v14
	v_addc_co_u32_e32 v1, vcc, v15, v1, vcc
	v_cmp_eq_u64_e32 vcc, 0, v[0:1]
	v_cndmask_b32_e32 v1, v1, v15, vcc
	v_cndmask_b32_e32 v0, v0, v14, vcc
	v_and_b32_e32 v3, v1, v3
	v_and_b32_e32 v2, v0, v2
	v_mul_lo_u32 v3, v3, 24
	v_mul_hi_u32 v14, v2, 24
	v_mul_lo_u32 v15, v2, 24
	s_waitcnt vmcnt(1)
	v_mov_b32_e32 v2, v12
	v_add_u32_e32 v3, v14, v3
	s_waitcnt vmcnt(0)
	v_add_co_u32_e32 v9, vcc, v9, v15
	v_addc_co_u32_e32 v10, vcc, v10, v3, vcc
	global_store_dwordx2 v[9:10], v[12:13], off
	v_mov_b32_e32 v3, v13
	s_waitcnt vmcnt(0)
	global_atomic_cmpswap_x2 v[2:3], v11, v[0:3], s[44:45] offset:24 glc
	s_waitcnt vmcnt(0)
	v_cmp_ne_u64_e32 vcc, v[2:3], v[12:13]
	s_and_b64 exec, exec, vcc
	s_cbranch_execz .LBB3_438
.LBB3_437:                              ; =>This Inner Loop Header: Depth=1
	s_sleep 1
	global_store_dwordx2 v[9:10], v[2:3], off
	s_waitcnt vmcnt(0)
	global_atomic_cmpswap_x2 v[12:13], v11, v[0:3], s[44:45] offset:24 glc
	s_waitcnt vmcnt(0)
	v_cmp_eq_u64_e32 vcc, v[12:13], v[2:3]
	v_mov_b32_e32 v2, v12
	s_or_b64 s[4:5], vcc, s[4:5]
	v_mov_b32_e32 v3, v13
	s_andn2_b64 exec, exec, s[4:5]
	s_cbranch_execnz .LBB3_437
.LBB3_438:
	s_or_b64 exec, exec, s[16:17]
	s_and_b64 vcc, exec, s[6:7]
	s_cbranch_vccz .LBB3_523
; %bb.439:
	s_waitcnt vmcnt(0)
	v_and_b32_e32 v32, 2, v7
	v_mov_b32_e32 v29, 0
	v_and_b32_e32 v0, -3, v7
	v_mov_b32_e32 v1, v8
	s_mov_b64 s[16:17], 3
	v_mov_b32_e32 v11, 2
	v_mov_b32_e32 v12, 1
	s_getpc_b64 s[10:11]
	s_add_u32 s10, s10, .str.5@rel32@lo+4
	s_addc_u32 s11, s11, .str.5@rel32@hi+12
	s_branch .LBB3_441
.LBB3_440:                              ;   in Loop: Header=BB3_441 Depth=1
	s_or_b64 exec, exec, s[22:23]
	s_sub_u32 s16, s16, s18
	s_subb_u32 s17, s17, s19
	s_add_u32 s10, s10, s18
	s_addc_u32 s11, s11, s19
	s_cmp_lg_u64 s[16:17], 0
	s_cbranch_scc0 .LBB3_522
.LBB3_441:                              ; =>This Loop Header: Depth=1
                                        ;     Child Loop BB3_444 Depth 2
                                        ;     Child Loop BB3_451 Depth 2
	;; [unrolled: 1-line block ×11, first 2 shown]
	v_cmp_lt_u64_e64 s[4:5], s[16:17], 56
	v_cmp_gt_u64_e64 s[20:21], s[16:17], 7
	s_and_b64 s[4:5], s[4:5], exec
	s_cselect_b32 s19, s17, 0
	s_cselect_b32 s18, s16, 56
	s_and_b64 vcc, exec, s[20:21]
	s_cbranch_vccnz .LBB3_446
; %bb.442:                              ;   in Loop: Header=BB3_441 Depth=1
	s_waitcnt vmcnt(0)
	v_mov_b32_e32 v2, 0
	s_cmp_eq_u64 s[16:17], 0
	v_mov_b32_e32 v3, 0
	s_mov_b64 s[4:5], 0
	s_cbranch_scc1 .LBB3_445
; %bb.443:                              ;   in Loop: Header=BB3_441 Depth=1
	v_mov_b32_e32 v2, 0
	s_lshl_b64 s[20:21], s[18:19], 3
	s_mov_b64 s[22:23], 0
	v_mov_b32_e32 v3, 0
	s_mov_b64 s[24:25], s[10:11]
.LBB3_444:                              ;   Parent Loop BB3_441 Depth=1
                                        ; =>  This Inner Loop Header: Depth=2
	global_load_ubyte v9, v29, s[24:25]
	s_waitcnt vmcnt(0)
	v_and_b32_e32 v28, 0xffff, v9
	v_lshlrev_b64 v[9:10], s22, v[28:29]
	s_add_u32 s22, s22, 8
	s_addc_u32 s23, s23, 0
	s_add_u32 s24, s24, 1
	s_addc_u32 s25, s25, 0
	v_or_b32_e32 v2, v9, v2
	s_cmp_lg_u32 s20, s22
	v_or_b32_e32 v3, v10, v3
	s_cbranch_scc1 .LBB3_444
.LBB3_445:                              ;   in Loop: Header=BB3_441 Depth=1
	s_mov_b32 s15, 0
	s_andn2_b64 vcc, exec, s[4:5]
	s_mov_b64 s[4:5], s[10:11]
	s_cbranch_vccz .LBB3_447
	s_branch .LBB3_448
.LBB3_446:                              ;   in Loop: Header=BB3_441 Depth=1
                                        ; implicit-def: $vgpr2_vgpr3
                                        ; implicit-def: $sgpr15
	s_mov_b64 s[4:5], s[10:11]
.LBB3_447:                              ;   in Loop: Header=BB3_441 Depth=1
	global_load_dwordx2 v[2:3], v29, s[10:11]
	s_add_i32 s15, s18, -8
	s_add_u32 s4, s10, 8
	s_addc_u32 s5, s11, 0
.LBB3_448:                              ;   in Loop: Header=BB3_441 Depth=1
	s_cmp_gt_u32 s15, 7
	s_cbranch_scc1 .LBB3_452
; %bb.449:                              ;   in Loop: Header=BB3_441 Depth=1
	s_cmp_eq_u32 s15, 0
	s_cbranch_scc1 .LBB3_453
; %bb.450:                              ;   in Loop: Header=BB3_441 Depth=1
	v_mov_b32_e32 v13, 0
	s_mov_b64 s[20:21], 0
	v_mov_b32_e32 v14, 0
	s_mov_b64 s[22:23], 0
.LBB3_451:                              ;   Parent Loop BB3_441 Depth=1
                                        ; =>  This Inner Loop Header: Depth=2
	s_add_u32 s24, s4, s22
	s_addc_u32 s25, s5, s23
	global_load_ubyte v9, v29, s[24:25]
	s_add_u32 s22, s22, 1
	s_addc_u32 s23, s23, 0
	s_waitcnt vmcnt(0)
	v_and_b32_e32 v28, 0xffff, v9
	v_lshlrev_b64 v[9:10], s20, v[28:29]
	s_add_u32 s20, s20, 8
	s_addc_u32 s21, s21, 0
	v_or_b32_e32 v13, v9, v13
	s_cmp_lg_u32 s15, s22
	v_or_b32_e32 v14, v10, v14
	s_cbranch_scc1 .LBB3_451
	s_branch .LBB3_454
.LBB3_452:                              ;   in Loop: Header=BB3_441 Depth=1
                                        ; implicit-def: $vgpr13_vgpr14
                                        ; implicit-def: $sgpr24
	s_branch .LBB3_455
.LBB3_453:                              ;   in Loop: Header=BB3_441 Depth=1
	v_mov_b32_e32 v13, 0
	v_mov_b32_e32 v14, 0
.LBB3_454:                              ;   in Loop: Header=BB3_441 Depth=1
	s_mov_b32 s24, 0
	s_cbranch_execnz .LBB3_456
.LBB3_455:                              ;   in Loop: Header=BB3_441 Depth=1
	global_load_dwordx2 v[13:14], v29, s[4:5]
	s_add_i32 s24, s15, -8
	s_add_u32 s4, s4, 8
	s_addc_u32 s5, s5, 0
.LBB3_456:                              ;   in Loop: Header=BB3_441 Depth=1
	s_cmp_gt_u32 s24, 7
	s_cbranch_scc1 .LBB3_460
; %bb.457:                              ;   in Loop: Header=BB3_441 Depth=1
	s_cmp_eq_u32 s24, 0
	s_cbranch_scc1 .LBB3_461
; %bb.458:                              ;   in Loop: Header=BB3_441 Depth=1
	v_mov_b32_e32 v15, 0
	s_mov_b64 s[20:21], 0
	v_mov_b32_e32 v16, 0
	s_mov_b64 s[22:23], 0
.LBB3_459:                              ;   Parent Loop BB3_441 Depth=1
                                        ; =>  This Inner Loop Header: Depth=2
	s_add_u32 s26, s4, s22
	s_addc_u32 s27, s5, s23
	global_load_ubyte v9, v29, s[26:27]
	s_add_u32 s22, s22, 1
	s_addc_u32 s23, s23, 0
	s_waitcnt vmcnt(0)
	v_and_b32_e32 v28, 0xffff, v9
	v_lshlrev_b64 v[9:10], s20, v[28:29]
	s_add_u32 s20, s20, 8
	s_addc_u32 s21, s21, 0
	v_or_b32_e32 v15, v9, v15
	s_cmp_lg_u32 s24, s22
	v_or_b32_e32 v16, v10, v16
	s_cbranch_scc1 .LBB3_459
	s_branch .LBB3_462
.LBB3_460:                              ;   in Loop: Header=BB3_441 Depth=1
                                        ; implicit-def: $sgpr15
	s_branch .LBB3_463
.LBB3_461:                              ;   in Loop: Header=BB3_441 Depth=1
	v_mov_b32_e32 v15, 0
	v_mov_b32_e32 v16, 0
.LBB3_462:                              ;   in Loop: Header=BB3_441 Depth=1
	s_mov_b32 s15, 0
	s_cbranch_execnz .LBB3_464
.LBB3_463:                              ;   in Loop: Header=BB3_441 Depth=1
	global_load_dwordx2 v[15:16], v29, s[4:5]
	s_add_i32 s15, s24, -8
	s_add_u32 s4, s4, 8
	s_addc_u32 s5, s5, 0
.LBB3_464:                              ;   in Loop: Header=BB3_441 Depth=1
	s_cmp_gt_u32 s15, 7
	s_cbranch_scc1 .LBB3_468
; %bb.465:                              ;   in Loop: Header=BB3_441 Depth=1
	s_cmp_eq_u32 s15, 0
	s_cbranch_scc1 .LBB3_469
; %bb.466:                              ;   in Loop: Header=BB3_441 Depth=1
	v_mov_b32_e32 v17, 0
	s_mov_b64 s[20:21], 0
	v_mov_b32_e32 v18, 0
	s_mov_b64 s[22:23], 0
.LBB3_467:                              ;   Parent Loop BB3_441 Depth=1
                                        ; =>  This Inner Loop Header: Depth=2
	s_add_u32 s24, s4, s22
	s_addc_u32 s25, s5, s23
	global_load_ubyte v9, v29, s[24:25]
	s_add_u32 s22, s22, 1
	s_addc_u32 s23, s23, 0
	s_waitcnt vmcnt(0)
	v_and_b32_e32 v28, 0xffff, v9
	v_lshlrev_b64 v[9:10], s20, v[28:29]
	s_add_u32 s20, s20, 8
	s_addc_u32 s21, s21, 0
	v_or_b32_e32 v17, v9, v17
	s_cmp_lg_u32 s15, s22
	v_or_b32_e32 v18, v10, v18
	s_cbranch_scc1 .LBB3_467
	s_branch .LBB3_470
.LBB3_468:                              ;   in Loop: Header=BB3_441 Depth=1
                                        ; implicit-def: $vgpr17_vgpr18
                                        ; implicit-def: $sgpr24
	s_branch .LBB3_471
.LBB3_469:                              ;   in Loop: Header=BB3_441 Depth=1
	v_mov_b32_e32 v17, 0
	v_mov_b32_e32 v18, 0
.LBB3_470:                              ;   in Loop: Header=BB3_441 Depth=1
	s_mov_b32 s24, 0
	s_cbranch_execnz .LBB3_472
.LBB3_471:                              ;   in Loop: Header=BB3_441 Depth=1
	global_load_dwordx2 v[17:18], v29, s[4:5]
	s_add_i32 s24, s15, -8
	s_add_u32 s4, s4, 8
	s_addc_u32 s5, s5, 0
.LBB3_472:                              ;   in Loop: Header=BB3_441 Depth=1
	s_cmp_gt_u32 s24, 7
	s_cbranch_scc1 .LBB3_476
; %bb.473:                              ;   in Loop: Header=BB3_441 Depth=1
	s_cmp_eq_u32 s24, 0
	s_cbranch_scc1 .LBB3_477
; %bb.474:                              ;   in Loop: Header=BB3_441 Depth=1
	v_mov_b32_e32 v19, 0
	s_mov_b64 s[20:21], 0
	v_mov_b32_e32 v20, 0
	s_mov_b64 s[22:23], 0
.LBB3_475:                              ;   Parent Loop BB3_441 Depth=1
                                        ; =>  This Inner Loop Header: Depth=2
	s_add_u32 s26, s4, s22
	s_addc_u32 s27, s5, s23
	global_load_ubyte v9, v29, s[26:27]
	s_add_u32 s22, s22, 1
	s_addc_u32 s23, s23, 0
	s_waitcnt vmcnt(0)
	v_and_b32_e32 v28, 0xffff, v9
	v_lshlrev_b64 v[9:10], s20, v[28:29]
	s_add_u32 s20, s20, 8
	s_addc_u32 s21, s21, 0
	v_or_b32_e32 v19, v9, v19
	s_cmp_lg_u32 s24, s22
	v_or_b32_e32 v20, v10, v20
	s_cbranch_scc1 .LBB3_475
	s_branch .LBB3_478
.LBB3_476:                              ;   in Loop: Header=BB3_441 Depth=1
                                        ; implicit-def: $sgpr15
	s_branch .LBB3_479
.LBB3_477:                              ;   in Loop: Header=BB3_441 Depth=1
	v_mov_b32_e32 v19, 0
	v_mov_b32_e32 v20, 0
.LBB3_478:                              ;   in Loop: Header=BB3_441 Depth=1
	s_mov_b32 s15, 0
	s_cbranch_execnz .LBB3_480
.LBB3_479:                              ;   in Loop: Header=BB3_441 Depth=1
	global_load_dwordx2 v[19:20], v29, s[4:5]
	s_add_i32 s15, s24, -8
	s_add_u32 s4, s4, 8
	s_addc_u32 s5, s5, 0
.LBB3_480:                              ;   in Loop: Header=BB3_441 Depth=1
	s_cmp_gt_u32 s15, 7
	s_cbranch_scc1 .LBB3_484
; %bb.481:                              ;   in Loop: Header=BB3_441 Depth=1
	s_cmp_eq_u32 s15, 0
	s_cbranch_scc1 .LBB3_485
; %bb.482:                              ;   in Loop: Header=BB3_441 Depth=1
	v_mov_b32_e32 v21, 0
	s_mov_b64 s[20:21], 0
	v_mov_b32_e32 v22, 0
	s_mov_b64 s[22:23], 0
.LBB3_483:                              ;   Parent Loop BB3_441 Depth=1
                                        ; =>  This Inner Loop Header: Depth=2
	s_add_u32 s24, s4, s22
	s_addc_u32 s25, s5, s23
	global_load_ubyte v9, v29, s[24:25]
	s_add_u32 s22, s22, 1
	s_addc_u32 s23, s23, 0
	s_waitcnt vmcnt(0)
	v_and_b32_e32 v28, 0xffff, v9
	v_lshlrev_b64 v[9:10], s20, v[28:29]
	s_add_u32 s20, s20, 8
	s_addc_u32 s21, s21, 0
	v_or_b32_e32 v21, v9, v21
	s_cmp_lg_u32 s15, s22
	v_or_b32_e32 v22, v10, v22
	s_cbranch_scc1 .LBB3_483
	s_branch .LBB3_486
.LBB3_484:                              ;   in Loop: Header=BB3_441 Depth=1
                                        ; implicit-def: $vgpr21_vgpr22
                                        ; implicit-def: $sgpr24
	s_branch .LBB3_487
.LBB3_485:                              ;   in Loop: Header=BB3_441 Depth=1
	v_mov_b32_e32 v21, 0
	v_mov_b32_e32 v22, 0
.LBB3_486:                              ;   in Loop: Header=BB3_441 Depth=1
	s_mov_b32 s24, 0
	s_cbranch_execnz .LBB3_488
.LBB3_487:                              ;   in Loop: Header=BB3_441 Depth=1
	global_load_dwordx2 v[21:22], v29, s[4:5]
	s_add_i32 s24, s15, -8
	s_add_u32 s4, s4, 8
	s_addc_u32 s5, s5, 0
.LBB3_488:                              ;   in Loop: Header=BB3_441 Depth=1
	s_cmp_gt_u32 s24, 7
	s_cbranch_scc1 .LBB3_492
; %bb.489:                              ;   in Loop: Header=BB3_441 Depth=1
	s_cmp_eq_u32 s24, 0
	s_cbranch_scc1 .LBB3_493
; %bb.490:                              ;   in Loop: Header=BB3_441 Depth=1
	v_mov_b32_e32 v23, 0
	s_mov_b64 s[20:21], 0
	v_mov_b32_e32 v24, 0
	s_mov_b64 s[22:23], s[4:5]
.LBB3_491:                              ;   Parent Loop BB3_441 Depth=1
                                        ; =>  This Inner Loop Header: Depth=2
	global_load_ubyte v9, v29, s[22:23]
	s_add_i32 s24, s24, -1
	s_waitcnt vmcnt(0)
	v_and_b32_e32 v28, 0xffff, v9
	v_lshlrev_b64 v[9:10], s20, v[28:29]
	s_add_u32 s20, s20, 8
	s_addc_u32 s21, s21, 0
	s_add_u32 s22, s22, 1
	s_addc_u32 s23, s23, 0
	v_or_b32_e32 v23, v9, v23
	s_cmp_lg_u32 s24, 0
	v_or_b32_e32 v24, v10, v24
	s_cbranch_scc1 .LBB3_491
	s_branch .LBB3_494
.LBB3_492:                              ;   in Loop: Header=BB3_441 Depth=1
	s_branch .LBB3_495
.LBB3_493:                              ;   in Loop: Header=BB3_441 Depth=1
	v_mov_b32_e32 v23, 0
	v_mov_b32_e32 v24, 0
.LBB3_494:                              ;   in Loop: Header=BB3_441 Depth=1
	s_cbranch_execnz .LBB3_496
.LBB3_495:                              ;   in Loop: Header=BB3_441 Depth=1
	global_load_dwordx2 v[23:24], v29, s[4:5]
.LBB3_496:                              ;   in Loop: Header=BB3_441 Depth=1
	v_readfirstlane_b32 s4, v51
	v_mov_b32_e32 v9, 0
	v_mov_b32_e32 v10, 0
	v_cmp_eq_u32_e64 s[4:5], s4, v51
	s_and_saveexec_b64 s[20:21], s[4:5]
	s_cbranch_execz .LBB3_502
; %bb.497:                              ;   in Loop: Header=BB3_441 Depth=1
	global_load_dwordx2 v[27:28], v29, s[44:45] offset:24 glc
	s_waitcnt vmcnt(0)
	buffer_wbinvl1_vol
	global_load_dwordx2 v[9:10], v29, s[44:45] offset:40
	global_load_dwordx2 v[25:26], v29, s[44:45]
	s_waitcnt vmcnt(1)
	v_and_b32_e32 v9, v9, v27
	v_and_b32_e32 v10, v10, v28
	v_mul_lo_u32 v10, v10, 24
	v_mul_hi_u32 v30, v9, 24
	v_mul_lo_u32 v9, v9, 24
	v_add_u32_e32 v10, v30, v10
	s_waitcnt vmcnt(0)
	v_add_co_u32_e32 v9, vcc, v25, v9
	v_addc_co_u32_e32 v10, vcc, v26, v10, vcc
	global_load_dwordx2 v[25:26], v[9:10], off glc
	s_waitcnt vmcnt(0)
	global_atomic_cmpswap_x2 v[9:10], v29, v[25:28], s[44:45] offset:24 glc
	s_waitcnt vmcnt(0)
	buffer_wbinvl1_vol
	v_cmp_ne_u64_e32 vcc, v[9:10], v[27:28]
	s_and_saveexec_b64 s[22:23], vcc
	s_cbranch_execz .LBB3_501
; %bb.498:                              ;   in Loop: Header=BB3_441 Depth=1
	s_mov_b64 s[24:25], 0
.LBB3_499:                              ;   Parent Loop BB3_441 Depth=1
                                        ; =>  This Inner Loop Header: Depth=2
	s_sleep 1
	global_load_dwordx2 v[25:26], v29, s[44:45] offset:40
	global_load_dwordx2 v[30:31], v29, s[44:45]
	v_mov_b32_e32 v28, v10
	v_mov_b32_e32 v27, v9
	s_waitcnt vmcnt(1)
	v_and_b32_e32 v9, v25, v27
	s_waitcnt vmcnt(0)
	v_mad_u64_u32 v[9:10], s[26:27], v9, 24, v[30:31]
	v_and_b32_e32 v25, v26, v28
	v_mad_u64_u32 v[25:26], s[26:27], v25, 24, v[10:11]
	v_mov_b32_e32 v10, v25
	global_load_dwordx2 v[25:26], v[9:10], off glc
	s_waitcnt vmcnt(0)
	global_atomic_cmpswap_x2 v[9:10], v29, v[25:28], s[44:45] offset:24 glc
	s_waitcnt vmcnt(0)
	buffer_wbinvl1_vol
	v_cmp_eq_u64_e32 vcc, v[9:10], v[27:28]
	s_or_b64 s[24:25], vcc, s[24:25]
	s_andn2_b64 exec, exec, s[24:25]
	s_cbranch_execnz .LBB3_499
; %bb.500:                              ;   in Loop: Header=BB3_441 Depth=1
	s_or_b64 exec, exec, s[24:25]
.LBB3_501:                              ;   in Loop: Header=BB3_441 Depth=1
	s_or_b64 exec, exec, s[22:23]
.LBB3_502:                              ;   in Loop: Header=BB3_441 Depth=1
	s_or_b64 exec, exec, s[20:21]
	global_load_dwordx2 v[30:31], v29, s[44:45] offset:40
	global_load_dwordx4 v[25:28], v29, s[44:45]
	v_readfirstlane_b32 s20, v9
	v_readfirstlane_b32 s21, v10
	s_mov_b64 s[22:23], exec
	s_waitcnt vmcnt(1)
	v_readfirstlane_b32 s24, v30
	v_readfirstlane_b32 s25, v31
	s_and_b64 s[24:25], s[20:21], s[24:25]
	s_mul_i32 s15, s25, 24
	s_mul_hi_u32 s26, s24, 24
	s_mul_i32 s27, s24, 24
	s_add_i32 s15, s26, s15
	v_mov_b32_e32 v9, s15
	s_waitcnt vmcnt(0)
	v_add_co_u32_e32 v30, vcc, s27, v25
	v_addc_co_u32_e32 v31, vcc, v26, v9, vcc
	s_and_saveexec_b64 s[26:27], s[4:5]
	s_cbranch_execz .LBB3_504
; %bb.503:                              ;   in Loop: Header=BB3_441 Depth=1
	v_mov_b32_e32 v9, s22
	v_mov_b32_e32 v10, s23
	global_store_dwordx4 v[30:31], v[9:12], off offset:8
.LBB3_504:                              ;   in Loop: Header=BB3_441 Depth=1
	s_or_b64 exec, exec, s[26:27]
	s_lshl_b64 s[22:23], s[24:25], 12
	v_mov_b32_e32 v9, s23
	v_add_co_u32_e32 v27, vcc, s22, v27
	v_addc_co_u32_e32 v33, vcc, v28, v9, vcc
	v_cmp_gt_u64_e64 vcc, s[16:17], 56
	v_or_b32_e32 v10, v0, v32
	s_lshl_b32 s15, s18, 2
	v_cndmask_b32_e32 v0, v10, v0, vcc
	s_add_i32 s15, s15, 28
	v_or_b32_e32 v9, 0, v1
	s_and_b32 s15, s15, 0x1e0
	v_and_b32_e32 v0, 0xffffff1f, v0
	v_cndmask_b32_e32 v1, v9, v1, vcc
	v_or_b32_e32 v0, s15, v0
	v_readfirstlane_b32 s22, v27
	v_readfirstlane_b32 s23, v33
	s_nop 4
	global_store_dwordx4 v50, v[0:3], s[22:23]
	global_store_dwordx4 v50, v[13:16], s[22:23] offset:16
	global_store_dwordx4 v50, v[17:20], s[22:23] offset:32
	;; [unrolled: 1-line block ×3, first 2 shown]
	s_and_saveexec_b64 s[22:23], s[4:5]
	s_cbranch_execz .LBB3_512
; %bb.505:                              ;   in Loop: Header=BB3_441 Depth=1
	global_load_dwordx2 v[15:16], v29, s[44:45] offset:32 glc
	global_load_dwordx2 v[0:1], v29, s[44:45] offset:40
	v_mov_b32_e32 v13, s20
	v_mov_b32_e32 v14, s21
	s_waitcnt vmcnt(0)
	v_readfirstlane_b32 s24, v0
	v_readfirstlane_b32 s25, v1
	s_and_b64 s[24:25], s[24:25], s[20:21]
	s_mul_i32 s15, s25, 24
	s_mul_hi_u32 s25, s24, 24
	s_mul_i32 s24, s24, 24
	s_add_i32 s15, s25, s15
	v_mov_b32_e32 v0, s15
	v_add_co_u32_e32 v9, vcc, s24, v25
	v_addc_co_u32_e32 v10, vcc, v26, v0, vcc
	global_store_dwordx2 v[9:10], v[15:16], off
	s_waitcnt vmcnt(0)
	global_atomic_cmpswap_x2 v[2:3], v29, v[13:16], s[44:45] offset:32 glc
	s_waitcnt vmcnt(0)
	v_cmp_ne_u64_e32 vcc, v[2:3], v[15:16]
	s_and_saveexec_b64 s[24:25], vcc
	s_cbranch_execz .LBB3_508
; %bb.506:                              ;   in Loop: Header=BB3_441 Depth=1
	s_mov_b64 s[26:27], 0
.LBB3_507:                              ;   Parent Loop BB3_441 Depth=1
                                        ; =>  This Inner Loop Header: Depth=2
	s_sleep 1
	global_store_dwordx2 v[9:10], v[2:3], off
	v_mov_b32_e32 v0, s20
	v_mov_b32_e32 v1, s21
	s_waitcnt vmcnt(0)
	global_atomic_cmpswap_x2 v[0:1], v29, v[0:3], s[44:45] offset:32 glc
	s_waitcnt vmcnt(0)
	v_cmp_eq_u64_e32 vcc, v[0:1], v[2:3]
	v_mov_b32_e32 v3, v1
	s_or_b64 s[26:27], vcc, s[26:27]
	v_mov_b32_e32 v2, v0
	s_andn2_b64 exec, exec, s[26:27]
	s_cbranch_execnz .LBB3_507
.LBB3_508:                              ;   in Loop: Header=BB3_441 Depth=1
	s_or_b64 exec, exec, s[24:25]
	global_load_dwordx2 v[0:1], v29, s[44:45] offset:16
	s_mov_b64 s[26:27], exec
	v_mbcnt_lo_u32_b32 v2, s26, 0
	v_mbcnt_hi_u32_b32 v2, s27, v2
	v_cmp_eq_u32_e32 vcc, 0, v2
	s_and_saveexec_b64 s[24:25], vcc
	s_cbranch_execz .LBB3_510
; %bb.509:                              ;   in Loop: Header=BB3_441 Depth=1
	s_bcnt1_i32_b64 s15, s[26:27]
	v_mov_b32_e32 v28, s15
	s_waitcnt vmcnt(0)
	global_atomic_add_x2 v[0:1], v[28:29], off offset:8
.LBB3_510:                              ;   in Loop: Header=BB3_441 Depth=1
	s_or_b64 exec, exec, s[24:25]
	s_waitcnt vmcnt(0)
	global_load_dwordx2 v[2:3], v[0:1], off offset:16
	s_waitcnt vmcnt(0)
	v_cmp_eq_u64_e32 vcc, 0, v[2:3]
	s_cbranch_vccnz .LBB3_512
; %bb.511:                              ;   in Loop: Header=BB3_441 Depth=1
	global_load_dword v28, v[0:1], off offset:24
	s_waitcnt vmcnt(0)
	v_and_b32_e32 v0, 0xffffff, v28
	v_readfirstlane_b32 m0, v0
	global_store_dwordx2 v[2:3], v[28:29], off
	s_sendmsg sendmsg(MSG_INTERRUPT)
.LBB3_512:                              ;   in Loop: Header=BB3_441 Depth=1
	s_or_b64 exec, exec, s[22:23]
	v_add_co_u32_e32 v0, vcc, v27, v50
	v_addc_co_u32_e32 v1, vcc, 0, v33, vcc
	s_branch .LBB3_516
.LBB3_513:                              ;   in Loop: Header=BB3_516 Depth=2
	s_or_b64 exec, exec, s[22:23]
	v_readfirstlane_b32 s15, v2
	s_cmp_eq_u32 s15, 0
	s_cbranch_scc1 .LBB3_515
; %bb.514:                              ;   in Loop: Header=BB3_516 Depth=2
	s_sleep 1
	s_cbranch_execnz .LBB3_516
	s_branch .LBB3_518
.LBB3_515:                              ;   in Loop: Header=BB3_441 Depth=1
	s_branch .LBB3_518
.LBB3_516:                              ;   Parent Loop BB3_441 Depth=1
                                        ; =>  This Inner Loop Header: Depth=2
	v_mov_b32_e32 v2, 1
	s_and_saveexec_b64 s[22:23], s[4:5]
	s_cbranch_execz .LBB3_513
; %bb.517:                              ;   in Loop: Header=BB3_516 Depth=2
	global_load_dword v2, v[30:31], off offset:20 glc
	s_waitcnt vmcnt(0)
	buffer_wbinvl1_vol
	v_and_b32_e32 v2, 1, v2
	s_branch .LBB3_513
.LBB3_518:                              ;   in Loop: Header=BB3_441 Depth=1
	global_load_dwordx4 v[0:3], v[0:1], off
	s_and_saveexec_b64 s[22:23], s[4:5]
	s_cbranch_execz .LBB3_440
; %bb.519:                              ;   in Loop: Header=BB3_441 Depth=1
	global_load_dwordx2 v[2:3], v29, s[44:45] offset:40
	global_load_dwordx2 v[9:10], v29, s[44:45] offset:24 glc
	global_load_dwordx2 v[16:17], v29, s[44:45]
	v_mov_b32_e32 v14, s21
	s_waitcnt vmcnt(2)
	v_add_co_u32_e32 v15, vcc, 1, v2
	v_addc_co_u32_e32 v18, vcc, 0, v3, vcc
	v_add_co_u32_e32 v13, vcc, s20, v15
	v_addc_co_u32_e32 v14, vcc, v18, v14, vcc
	v_cmp_eq_u64_e32 vcc, 0, v[13:14]
	v_cndmask_b32_e32 v14, v14, v18, vcc
	v_cndmask_b32_e32 v13, v13, v15, vcc
	v_and_b32_e32 v3, v14, v3
	v_and_b32_e32 v2, v13, v2
	v_mul_lo_u32 v3, v3, 24
	v_mul_hi_u32 v18, v2, 24
	v_mul_lo_u32 v2, v2, 24
	s_waitcnt vmcnt(1)
	v_mov_b32_e32 v15, v9
	v_add_u32_e32 v3, v18, v3
	s_waitcnt vmcnt(0)
	v_add_co_u32_e32 v2, vcc, v16, v2
	v_addc_co_u32_e32 v3, vcc, v17, v3, vcc
	global_store_dwordx2 v[2:3], v[9:10], off
	v_mov_b32_e32 v16, v10
	s_waitcnt vmcnt(0)
	global_atomic_cmpswap_x2 v[15:16], v29, v[13:16], s[44:45] offset:24 glc
	s_waitcnt vmcnt(0)
	v_cmp_ne_u64_e32 vcc, v[15:16], v[9:10]
	s_and_b64 exec, exec, vcc
	s_cbranch_execz .LBB3_440
; %bb.520:                              ;   in Loop: Header=BB3_441 Depth=1
	s_mov_b64 s[4:5], 0
.LBB3_521:                              ;   Parent Loop BB3_441 Depth=1
                                        ; =>  This Inner Loop Header: Depth=2
	s_sleep 1
	global_store_dwordx2 v[2:3], v[15:16], off
	s_waitcnt vmcnt(0)
	global_atomic_cmpswap_x2 v[9:10], v29, v[13:16], s[44:45] offset:24 glc
	s_waitcnt vmcnt(0)
	v_cmp_eq_u64_e32 vcc, v[9:10], v[15:16]
	v_mov_b32_e32 v16, v10
	s_or_b64 s[4:5], vcc, s[4:5]
	v_mov_b32_e32 v15, v9
	s_andn2_b64 exec, exec, s[4:5]
	s_cbranch_execnz .LBB3_521
	s_branch .LBB3_440
.LBB3_522:
	s_branch .LBB3_550
.LBB3_523:
                                        ; implicit-def: $vgpr0_vgpr1
	s_cbranch_execz .LBB3_550
; %bb.524:
	v_readfirstlane_b32 s4, v51
	v_mov_b32_e32 v10, 0
	v_mov_b32_e32 v11, 0
	v_cmp_eq_u32_e64 s[4:5], s4, v51
	s_and_saveexec_b64 s[10:11], s[4:5]
	s_cbranch_execz .LBB3_530
; %bb.525:
	s_waitcnt vmcnt(0)
	v_mov_b32_e32 v0, 0
	global_load_dwordx2 v[12:13], v0, s[44:45] offset:24 glc
	s_waitcnt vmcnt(0)
	buffer_wbinvl1_vol
	global_load_dwordx2 v[1:2], v0, s[44:45] offset:40
	global_load_dwordx2 v[9:10], v0, s[44:45]
	s_waitcnt vmcnt(1)
	v_and_b32_e32 v1, v1, v12
	v_and_b32_e32 v2, v2, v13
	v_mul_lo_u32 v2, v2, 24
	v_mul_hi_u32 v3, v1, 24
	v_mul_lo_u32 v1, v1, 24
	v_add_u32_e32 v2, v3, v2
	s_waitcnt vmcnt(0)
	v_add_co_u32_e32 v1, vcc, v9, v1
	v_addc_co_u32_e32 v2, vcc, v10, v2, vcc
	global_load_dwordx2 v[10:11], v[1:2], off glc
	s_waitcnt vmcnt(0)
	global_atomic_cmpswap_x2 v[10:11], v0, v[10:13], s[44:45] offset:24 glc
	s_waitcnt vmcnt(0)
	buffer_wbinvl1_vol
	v_cmp_ne_u64_e32 vcc, v[10:11], v[12:13]
	s_and_saveexec_b64 s[16:17], vcc
	s_cbranch_execz .LBB3_529
; %bb.526:
	s_mov_b64 s[18:19], 0
.LBB3_527:                              ; =>This Inner Loop Header: Depth=1
	s_sleep 1
	global_load_dwordx2 v[1:2], v0, s[44:45] offset:40
	global_load_dwordx2 v[14:15], v0, s[44:45]
	v_mov_b32_e32 v13, v11
	v_mov_b32_e32 v12, v10
	s_waitcnt vmcnt(1)
	v_and_b32_e32 v1, v1, v12
	s_waitcnt vmcnt(0)
	v_mad_u64_u32 v[9:10], s[20:21], v1, 24, v[14:15]
	v_and_b32_e32 v2, v2, v13
	v_mov_b32_e32 v1, v10
	v_mad_u64_u32 v[1:2], s[20:21], v2, 24, v[1:2]
	v_mov_b32_e32 v10, v1
	global_load_dwordx2 v[10:11], v[9:10], off glc
	s_waitcnt vmcnt(0)
	global_atomic_cmpswap_x2 v[10:11], v0, v[10:13], s[44:45] offset:24 glc
	s_waitcnt vmcnt(0)
	buffer_wbinvl1_vol
	v_cmp_eq_u64_e32 vcc, v[10:11], v[12:13]
	s_or_b64 s[18:19], vcc, s[18:19]
	s_andn2_b64 exec, exec, s[18:19]
	s_cbranch_execnz .LBB3_527
; %bb.528:
	s_or_b64 exec, exec, s[18:19]
.LBB3_529:
	s_or_b64 exec, exec, s[16:17]
.LBB3_530:
	s_or_b64 exec, exec, s[10:11]
	v_mov_b32_e32 v9, 0
	global_load_dwordx2 v[12:13], v9, s[44:45] offset:40
	global_load_dwordx4 v[0:3], v9, s[44:45]
	v_readfirstlane_b32 s10, v10
	v_readfirstlane_b32 s11, v11
	s_mov_b64 s[16:17], exec
	s_waitcnt vmcnt(1)
	v_readfirstlane_b32 s18, v12
	v_readfirstlane_b32 s19, v13
	s_and_b64 s[18:19], s[10:11], s[18:19]
	s_mul_i32 s15, s19, 24
	s_mul_hi_u32 s20, s18, 24
	s_mul_i32 s21, s18, 24
	s_add_i32 s15, s20, s15
	v_mov_b32_e32 v10, s15
	s_waitcnt vmcnt(0)
	v_add_co_u32_e32 v11, vcc, s21, v0
	v_addc_co_u32_e32 v12, vcc, v1, v10, vcc
	s_and_saveexec_b64 s[20:21], s[4:5]
	s_cbranch_execz .LBB3_532
; %bb.531:
	v_mov_b32_e32 v13, s16
	v_mov_b32_e32 v14, s17
	;; [unrolled: 1-line block ×4, first 2 shown]
	global_store_dwordx4 v[11:12], v[13:16], off offset:8
.LBB3_532:
	s_or_b64 exec, exec, s[20:21]
	s_lshl_b64 s[16:17], s[18:19], 12
	v_mov_b32_e32 v10, s17
	v_add_co_u32_e32 v2, vcc, s16, v2
	v_addc_co_u32_e32 v3, vcc, v3, v10, vcc
	s_movk_i32 s15, 0xff1f
	v_and_or_b32 v7, v7, s15, 32
	s_mov_b32 s16, 0
	v_mov_b32_e32 v10, v9
	v_readfirstlane_b32 s20, v2
	v_readfirstlane_b32 s21, v3
	v_add_co_u32_e32 v13, vcc, v2, v50
	s_mov_b32 s17, s16
	s_mov_b32 s18, s16
	;; [unrolled: 1-line block ×3, first 2 shown]
	s_nop 0
	global_store_dwordx4 v50, v[7:10], s[20:21]
	v_addc_co_u32_e32 v14, vcc, 0, v3, vcc
	v_mov_b32_e32 v7, s16
	v_mov_b32_e32 v8, s17
	;; [unrolled: 1-line block ×4, first 2 shown]
	global_store_dwordx4 v50, v[7:10], s[20:21] offset:16
	global_store_dwordx4 v50, v[7:10], s[20:21] offset:32
	;; [unrolled: 1-line block ×3, first 2 shown]
	s_and_saveexec_b64 s[16:17], s[4:5]
	s_cbranch_execz .LBB3_540
; %bb.533:
	v_mov_b32_e32 v9, 0
	global_load_dwordx2 v[17:18], v9, s[44:45] offset:32 glc
	global_load_dwordx2 v[2:3], v9, s[44:45] offset:40
	v_mov_b32_e32 v15, s10
	v_mov_b32_e32 v16, s11
	s_waitcnt vmcnt(0)
	v_readfirstlane_b32 s18, v2
	v_readfirstlane_b32 s19, v3
	s_and_b64 s[18:19], s[18:19], s[10:11]
	s_mul_i32 s15, s19, 24
	s_mul_hi_u32 s19, s18, 24
	s_mul_i32 s18, s18, 24
	s_add_i32 s15, s19, s15
	v_mov_b32_e32 v2, s15
	v_add_co_u32_e32 v7, vcc, s18, v0
	v_addc_co_u32_e32 v8, vcc, v1, v2, vcc
	global_store_dwordx2 v[7:8], v[17:18], off
	s_waitcnt vmcnt(0)
	global_atomic_cmpswap_x2 v[2:3], v9, v[15:18], s[44:45] offset:32 glc
	s_waitcnt vmcnt(0)
	v_cmp_ne_u64_e32 vcc, v[2:3], v[17:18]
	s_and_saveexec_b64 s[18:19], vcc
	s_cbranch_execz .LBB3_536
; %bb.534:
	s_mov_b64 s[20:21], 0
.LBB3_535:                              ; =>This Inner Loop Header: Depth=1
	s_sleep 1
	global_store_dwordx2 v[7:8], v[2:3], off
	v_mov_b32_e32 v0, s10
	v_mov_b32_e32 v1, s11
	s_waitcnt vmcnt(0)
	global_atomic_cmpswap_x2 v[0:1], v9, v[0:3], s[44:45] offset:32 glc
	s_waitcnt vmcnt(0)
	v_cmp_eq_u64_e32 vcc, v[0:1], v[2:3]
	v_mov_b32_e32 v3, v1
	s_or_b64 s[20:21], vcc, s[20:21]
	v_mov_b32_e32 v2, v0
	s_andn2_b64 exec, exec, s[20:21]
	s_cbranch_execnz .LBB3_535
.LBB3_536:
	s_or_b64 exec, exec, s[18:19]
	v_mov_b32_e32 v3, 0
	global_load_dwordx2 v[0:1], v3, s[44:45] offset:16
	s_mov_b64 s[18:19], exec
	v_mbcnt_lo_u32_b32 v2, s18, 0
	v_mbcnt_hi_u32_b32 v2, s19, v2
	v_cmp_eq_u32_e32 vcc, 0, v2
	s_and_saveexec_b64 s[20:21], vcc
	s_cbranch_execz .LBB3_538
; %bb.537:
	s_bcnt1_i32_b64 s15, s[18:19]
	v_mov_b32_e32 v2, s15
	s_waitcnt vmcnt(0)
	global_atomic_add_x2 v[0:1], v[2:3], off offset:8
.LBB3_538:
	s_or_b64 exec, exec, s[20:21]
	s_waitcnt vmcnt(0)
	global_load_dwordx2 v[2:3], v[0:1], off offset:16
	s_waitcnt vmcnt(0)
	v_cmp_eq_u64_e32 vcc, 0, v[2:3]
	s_cbranch_vccnz .LBB3_540
; %bb.539:
	global_load_dword v0, v[0:1], off offset:24
	v_mov_b32_e32 v1, 0
	s_waitcnt vmcnt(0)
	global_store_dwordx2 v[2:3], v[0:1], off
	v_and_b32_e32 v0, 0xffffff, v0
	v_readfirstlane_b32 m0, v0
	s_sendmsg sendmsg(MSG_INTERRUPT)
.LBB3_540:
	s_or_b64 exec, exec, s[16:17]
	s_branch .LBB3_544
.LBB3_541:                              ;   in Loop: Header=BB3_544 Depth=1
	s_or_b64 exec, exec, s[16:17]
	v_readfirstlane_b32 s15, v0
	s_cmp_eq_u32 s15, 0
	s_cbranch_scc1 .LBB3_543
; %bb.542:                              ;   in Loop: Header=BB3_544 Depth=1
	s_sleep 1
	s_cbranch_execnz .LBB3_544
	s_branch .LBB3_546
.LBB3_543:
	s_branch .LBB3_546
.LBB3_544:                              ; =>This Inner Loop Header: Depth=1
	v_mov_b32_e32 v0, 1
	s_and_saveexec_b64 s[16:17], s[4:5]
	s_cbranch_execz .LBB3_541
; %bb.545:                              ;   in Loop: Header=BB3_544 Depth=1
	global_load_dword v0, v[11:12], off offset:20 glc
	s_waitcnt vmcnt(0)
	buffer_wbinvl1_vol
	v_and_b32_e32 v0, 1, v0
	s_branch .LBB3_541
.LBB3_546:
	global_load_dwordx2 v[0:1], v[13:14], off
	s_and_saveexec_b64 s[16:17], s[4:5]
	s_cbranch_execz .LBB3_549
; %bb.547:
	v_mov_b32_e32 v11, 0
	global_load_dwordx2 v[2:3], v11, s[44:45] offset:40
	global_load_dwordx2 v[12:13], v11, s[44:45] offset:24 glc
	global_load_dwordx2 v[14:15], v11, s[44:45]
	v_mov_b32_e32 v8, s11
	s_mov_b64 s[4:5], 0
	s_waitcnt vmcnt(2)
	v_add_co_u32_e32 v9, vcc, 1, v2
	v_addc_co_u32_e32 v10, vcc, 0, v3, vcc
	v_add_co_u32_e32 v7, vcc, s10, v9
	v_addc_co_u32_e32 v8, vcc, v10, v8, vcc
	v_cmp_eq_u64_e32 vcc, 0, v[7:8]
	v_cndmask_b32_e32 v8, v8, v10, vcc
	v_cndmask_b32_e32 v7, v7, v9, vcc
	v_and_b32_e32 v3, v8, v3
	v_and_b32_e32 v2, v7, v2
	v_mul_lo_u32 v3, v3, 24
	v_mul_hi_u32 v10, v2, 24
	v_mul_lo_u32 v2, v2, 24
	s_waitcnt vmcnt(1)
	v_mov_b32_e32 v9, v12
	v_add_u32_e32 v3, v10, v3
	s_waitcnt vmcnt(0)
	v_add_co_u32_e32 v2, vcc, v14, v2
	v_addc_co_u32_e32 v3, vcc, v15, v3, vcc
	global_store_dwordx2 v[2:3], v[12:13], off
	v_mov_b32_e32 v10, v13
	s_waitcnt vmcnt(0)
	global_atomic_cmpswap_x2 v[9:10], v11, v[7:10], s[44:45] offset:24 glc
	s_waitcnt vmcnt(0)
	v_cmp_ne_u64_e32 vcc, v[9:10], v[12:13]
	s_and_b64 exec, exec, vcc
	s_cbranch_execz .LBB3_549
.LBB3_548:                              ; =>This Inner Loop Header: Depth=1
	s_sleep 1
	global_store_dwordx2 v[2:3], v[9:10], off
	s_waitcnt vmcnt(0)
	global_atomic_cmpswap_x2 v[12:13], v11, v[7:10], s[44:45] offset:24 glc
	s_waitcnt vmcnt(0)
	v_cmp_eq_u64_e32 vcc, v[12:13], v[9:10]
	v_mov_b32_e32 v9, v12
	s_or_b64 s[4:5], vcc, s[4:5]
	v_mov_b32_e32 v10, v13
	s_andn2_b64 exec, exec, s[4:5]
	s_cbranch_execnz .LBB3_548
.LBB3_549:
	s_or_b64 exec, exec, s[16:17]
.LBB3_550:
	s_getpc_b64 s[10:11]
	s_add_u32 s10, s10, .str.1@rel32@lo+4
	s_addc_u32 s11, s11, .str.1@rel32@hi+12
	s_cmp_lg_u64 s[10:11], 0
	s_cbranch_scc0 .LBB3_635
; %bb.551:
	s_waitcnt vmcnt(0)
	v_and_b32_e32 v11, -3, v0
	v_mov_b32_e32 v12, v1
	s_mov_b64 s[16:17], 0x53
	v_mov_b32_e32 v3, 0
	v_mov_b32_e32 v9, 2
	;; [unrolled: 1-line block ×3, first 2 shown]
	s_branch .LBB3_553
.LBB3_552:                              ;   in Loop: Header=BB3_553 Depth=1
	s_or_b64 exec, exec, s[22:23]
	s_sub_u32 s16, s16, s18
	s_subb_u32 s17, s17, s19
	s_add_u32 s10, s10, s18
	s_addc_u32 s11, s11, s19
	s_cmp_lg_u64 s[16:17], 0
	s_cbranch_scc0 .LBB3_634
.LBB3_553:                              ; =>This Loop Header: Depth=1
                                        ;     Child Loop BB3_556 Depth 2
                                        ;     Child Loop BB3_563 Depth 2
	;; [unrolled: 1-line block ×11, first 2 shown]
	v_cmp_lt_u64_e64 s[4:5], s[16:17], 56
	v_cmp_gt_u64_e64 s[20:21], s[16:17], 7
	s_and_b64 s[4:5], s[4:5], exec
	s_cselect_b32 s19, s17, 0
	s_cselect_b32 s18, s16, 56
	s_and_b64 vcc, exec, s[20:21]
	s_cbranch_vccnz .LBB3_558
; %bb.554:                              ;   in Loop: Header=BB3_553 Depth=1
	s_waitcnt vmcnt(0)
	v_mov_b32_e32 v13, 0
	s_cmp_eq_u64 s[16:17], 0
	v_mov_b32_e32 v14, 0
	s_mov_b64 s[4:5], 0
	s_cbranch_scc1 .LBB3_557
; %bb.555:                              ;   in Loop: Header=BB3_553 Depth=1
	v_mov_b32_e32 v13, 0
	s_lshl_b64 s[20:21], s[18:19], 3
	s_mov_b64 s[22:23], 0
	v_mov_b32_e32 v14, 0
	s_mov_b64 s[24:25], s[10:11]
.LBB3_556:                              ;   Parent Loop BB3_553 Depth=1
                                        ; =>  This Inner Loop Header: Depth=2
	global_load_ubyte v2, v3, s[24:25]
	s_waitcnt vmcnt(0)
	v_and_b32_e32 v2, 0xffff, v2
	v_lshlrev_b64 v[7:8], s22, v[2:3]
	s_add_u32 s22, s22, 8
	s_addc_u32 s23, s23, 0
	s_add_u32 s24, s24, 1
	s_addc_u32 s25, s25, 0
	v_or_b32_e32 v13, v7, v13
	s_cmp_lg_u32 s20, s22
	v_or_b32_e32 v14, v8, v14
	s_cbranch_scc1 .LBB3_556
.LBB3_557:                              ;   in Loop: Header=BB3_553 Depth=1
	s_mov_b32 s15, 0
	s_andn2_b64 vcc, exec, s[4:5]
	s_mov_b64 s[4:5], s[10:11]
	s_cbranch_vccz .LBB3_559
	s_branch .LBB3_560
.LBB3_558:                              ;   in Loop: Header=BB3_553 Depth=1
                                        ; implicit-def: $sgpr15
	s_mov_b64 s[4:5], s[10:11]
.LBB3_559:                              ;   in Loop: Header=BB3_553 Depth=1
	global_load_dwordx2 v[13:14], v3, s[10:11]
	s_add_i32 s15, s18, -8
	s_add_u32 s4, s10, 8
	s_addc_u32 s5, s11, 0
.LBB3_560:                              ;   in Loop: Header=BB3_553 Depth=1
	s_cmp_gt_u32 s15, 7
	s_cbranch_scc1 .LBB3_564
; %bb.561:                              ;   in Loop: Header=BB3_553 Depth=1
	s_cmp_eq_u32 s15, 0
	s_cbranch_scc1 .LBB3_565
; %bb.562:                              ;   in Loop: Header=BB3_553 Depth=1
	v_mov_b32_e32 v15, 0
	s_mov_b64 s[20:21], 0
	v_mov_b32_e32 v16, 0
	s_mov_b64 s[22:23], 0
.LBB3_563:                              ;   Parent Loop BB3_553 Depth=1
                                        ; =>  This Inner Loop Header: Depth=2
	s_add_u32 s24, s4, s22
	s_addc_u32 s25, s5, s23
	global_load_ubyte v2, v3, s[24:25]
	s_add_u32 s22, s22, 1
	s_addc_u32 s23, s23, 0
	s_waitcnt vmcnt(0)
	v_and_b32_e32 v2, 0xffff, v2
	v_lshlrev_b64 v[7:8], s20, v[2:3]
	s_add_u32 s20, s20, 8
	s_addc_u32 s21, s21, 0
	v_or_b32_e32 v15, v7, v15
	s_cmp_lg_u32 s15, s22
	v_or_b32_e32 v16, v8, v16
	s_cbranch_scc1 .LBB3_563
	s_branch .LBB3_566
.LBB3_564:                              ;   in Loop: Header=BB3_553 Depth=1
                                        ; implicit-def: $vgpr15_vgpr16
                                        ; implicit-def: $sgpr24
	s_branch .LBB3_567
.LBB3_565:                              ;   in Loop: Header=BB3_553 Depth=1
	v_mov_b32_e32 v15, 0
	v_mov_b32_e32 v16, 0
.LBB3_566:                              ;   in Loop: Header=BB3_553 Depth=1
	s_mov_b32 s24, 0
	s_cbranch_execnz .LBB3_568
.LBB3_567:                              ;   in Loop: Header=BB3_553 Depth=1
	global_load_dwordx2 v[15:16], v3, s[4:5]
	s_add_i32 s24, s15, -8
	s_add_u32 s4, s4, 8
	s_addc_u32 s5, s5, 0
.LBB3_568:                              ;   in Loop: Header=BB3_553 Depth=1
	s_cmp_gt_u32 s24, 7
	s_cbranch_scc1 .LBB3_572
; %bb.569:                              ;   in Loop: Header=BB3_553 Depth=1
	s_cmp_eq_u32 s24, 0
	s_cbranch_scc1 .LBB3_573
; %bb.570:                              ;   in Loop: Header=BB3_553 Depth=1
	v_mov_b32_e32 v17, 0
	s_mov_b64 s[20:21], 0
	v_mov_b32_e32 v18, 0
	s_mov_b64 s[22:23], 0
.LBB3_571:                              ;   Parent Loop BB3_553 Depth=1
                                        ; =>  This Inner Loop Header: Depth=2
	s_add_u32 s26, s4, s22
	s_addc_u32 s27, s5, s23
	global_load_ubyte v2, v3, s[26:27]
	s_add_u32 s22, s22, 1
	s_addc_u32 s23, s23, 0
	s_waitcnt vmcnt(0)
	v_and_b32_e32 v2, 0xffff, v2
	v_lshlrev_b64 v[7:8], s20, v[2:3]
	s_add_u32 s20, s20, 8
	s_addc_u32 s21, s21, 0
	v_or_b32_e32 v17, v7, v17
	s_cmp_lg_u32 s24, s22
	v_or_b32_e32 v18, v8, v18
	s_cbranch_scc1 .LBB3_571
	s_branch .LBB3_574
.LBB3_572:                              ;   in Loop: Header=BB3_553 Depth=1
                                        ; implicit-def: $sgpr15
	s_branch .LBB3_575
.LBB3_573:                              ;   in Loop: Header=BB3_553 Depth=1
	v_mov_b32_e32 v17, 0
	v_mov_b32_e32 v18, 0
.LBB3_574:                              ;   in Loop: Header=BB3_553 Depth=1
	s_mov_b32 s15, 0
	s_cbranch_execnz .LBB3_576
.LBB3_575:                              ;   in Loop: Header=BB3_553 Depth=1
	global_load_dwordx2 v[17:18], v3, s[4:5]
	s_add_i32 s15, s24, -8
	s_add_u32 s4, s4, 8
	s_addc_u32 s5, s5, 0
.LBB3_576:                              ;   in Loop: Header=BB3_553 Depth=1
	s_cmp_gt_u32 s15, 7
	s_cbranch_scc1 .LBB3_580
; %bb.577:                              ;   in Loop: Header=BB3_553 Depth=1
	s_cmp_eq_u32 s15, 0
	s_cbranch_scc1 .LBB3_581
; %bb.578:                              ;   in Loop: Header=BB3_553 Depth=1
	v_mov_b32_e32 v19, 0
	s_mov_b64 s[20:21], 0
	v_mov_b32_e32 v20, 0
	s_mov_b64 s[22:23], 0
.LBB3_579:                              ;   Parent Loop BB3_553 Depth=1
                                        ; =>  This Inner Loop Header: Depth=2
	s_add_u32 s24, s4, s22
	s_addc_u32 s25, s5, s23
	global_load_ubyte v2, v3, s[24:25]
	s_add_u32 s22, s22, 1
	s_addc_u32 s23, s23, 0
	s_waitcnt vmcnt(0)
	v_and_b32_e32 v2, 0xffff, v2
	v_lshlrev_b64 v[7:8], s20, v[2:3]
	s_add_u32 s20, s20, 8
	s_addc_u32 s21, s21, 0
	v_or_b32_e32 v19, v7, v19
	s_cmp_lg_u32 s15, s22
	v_or_b32_e32 v20, v8, v20
	s_cbranch_scc1 .LBB3_579
	s_branch .LBB3_582
.LBB3_580:                              ;   in Loop: Header=BB3_553 Depth=1
                                        ; implicit-def: $vgpr19_vgpr20
                                        ; implicit-def: $sgpr24
	s_branch .LBB3_583
.LBB3_581:                              ;   in Loop: Header=BB3_553 Depth=1
	v_mov_b32_e32 v19, 0
	v_mov_b32_e32 v20, 0
.LBB3_582:                              ;   in Loop: Header=BB3_553 Depth=1
	s_mov_b32 s24, 0
	s_cbranch_execnz .LBB3_584
.LBB3_583:                              ;   in Loop: Header=BB3_553 Depth=1
	global_load_dwordx2 v[19:20], v3, s[4:5]
	s_add_i32 s24, s15, -8
	s_add_u32 s4, s4, 8
	s_addc_u32 s5, s5, 0
.LBB3_584:                              ;   in Loop: Header=BB3_553 Depth=1
	s_cmp_gt_u32 s24, 7
	s_cbranch_scc1 .LBB3_588
; %bb.585:                              ;   in Loop: Header=BB3_553 Depth=1
	s_cmp_eq_u32 s24, 0
	s_cbranch_scc1 .LBB3_589
; %bb.586:                              ;   in Loop: Header=BB3_553 Depth=1
	v_mov_b32_e32 v21, 0
	s_mov_b64 s[20:21], 0
	v_mov_b32_e32 v22, 0
	s_mov_b64 s[22:23], 0
.LBB3_587:                              ;   Parent Loop BB3_553 Depth=1
                                        ; =>  This Inner Loop Header: Depth=2
	s_add_u32 s26, s4, s22
	s_addc_u32 s27, s5, s23
	global_load_ubyte v2, v3, s[26:27]
	s_add_u32 s22, s22, 1
	s_addc_u32 s23, s23, 0
	s_waitcnt vmcnt(0)
	v_and_b32_e32 v2, 0xffff, v2
	v_lshlrev_b64 v[7:8], s20, v[2:3]
	s_add_u32 s20, s20, 8
	s_addc_u32 s21, s21, 0
	v_or_b32_e32 v21, v7, v21
	s_cmp_lg_u32 s24, s22
	v_or_b32_e32 v22, v8, v22
	s_cbranch_scc1 .LBB3_587
	s_branch .LBB3_590
.LBB3_588:                              ;   in Loop: Header=BB3_553 Depth=1
                                        ; implicit-def: $sgpr15
	s_branch .LBB3_591
.LBB3_589:                              ;   in Loop: Header=BB3_553 Depth=1
	v_mov_b32_e32 v21, 0
	v_mov_b32_e32 v22, 0
.LBB3_590:                              ;   in Loop: Header=BB3_553 Depth=1
	s_mov_b32 s15, 0
	s_cbranch_execnz .LBB3_592
.LBB3_591:                              ;   in Loop: Header=BB3_553 Depth=1
	global_load_dwordx2 v[21:22], v3, s[4:5]
	s_add_i32 s15, s24, -8
	s_add_u32 s4, s4, 8
	s_addc_u32 s5, s5, 0
.LBB3_592:                              ;   in Loop: Header=BB3_553 Depth=1
	s_cmp_gt_u32 s15, 7
	s_cbranch_scc1 .LBB3_596
; %bb.593:                              ;   in Loop: Header=BB3_553 Depth=1
	s_cmp_eq_u32 s15, 0
	s_cbranch_scc1 .LBB3_597
; %bb.594:                              ;   in Loop: Header=BB3_553 Depth=1
	v_mov_b32_e32 v23, 0
	s_mov_b64 s[20:21], 0
	v_mov_b32_e32 v24, 0
	s_mov_b64 s[22:23], 0
.LBB3_595:                              ;   Parent Loop BB3_553 Depth=1
                                        ; =>  This Inner Loop Header: Depth=2
	s_add_u32 s24, s4, s22
	s_addc_u32 s25, s5, s23
	global_load_ubyte v2, v3, s[24:25]
	s_add_u32 s22, s22, 1
	s_addc_u32 s23, s23, 0
	s_waitcnt vmcnt(0)
	v_and_b32_e32 v2, 0xffff, v2
	v_lshlrev_b64 v[7:8], s20, v[2:3]
	s_add_u32 s20, s20, 8
	s_addc_u32 s21, s21, 0
	v_or_b32_e32 v23, v7, v23
	s_cmp_lg_u32 s15, s22
	v_or_b32_e32 v24, v8, v24
	s_cbranch_scc1 .LBB3_595
	s_branch .LBB3_598
.LBB3_596:                              ;   in Loop: Header=BB3_553 Depth=1
                                        ; implicit-def: $vgpr23_vgpr24
                                        ; implicit-def: $sgpr24
	s_branch .LBB3_599
.LBB3_597:                              ;   in Loop: Header=BB3_553 Depth=1
	v_mov_b32_e32 v23, 0
	v_mov_b32_e32 v24, 0
.LBB3_598:                              ;   in Loop: Header=BB3_553 Depth=1
	s_mov_b32 s24, 0
	s_cbranch_execnz .LBB3_600
.LBB3_599:                              ;   in Loop: Header=BB3_553 Depth=1
	global_load_dwordx2 v[23:24], v3, s[4:5]
	s_add_i32 s24, s15, -8
	s_add_u32 s4, s4, 8
	s_addc_u32 s5, s5, 0
.LBB3_600:                              ;   in Loop: Header=BB3_553 Depth=1
	s_cmp_gt_u32 s24, 7
	s_cbranch_scc1 .LBB3_604
; %bb.601:                              ;   in Loop: Header=BB3_553 Depth=1
	s_cmp_eq_u32 s24, 0
	s_cbranch_scc1 .LBB3_605
; %bb.602:                              ;   in Loop: Header=BB3_553 Depth=1
	v_mov_b32_e32 v25, 0
	s_mov_b64 s[20:21], 0
	v_mov_b32_e32 v26, 0
	s_mov_b64 s[22:23], s[4:5]
.LBB3_603:                              ;   Parent Loop BB3_553 Depth=1
                                        ; =>  This Inner Loop Header: Depth=2
	global_load_ubyte v2, v3, s[22:23]
	s_add_i32 s24, s24, -1
	s_waitcnt vmcnt(0)
	v_and_b32_e32 v2, 0xffff, v2
	v_lshlrev_b64 v[7:8], s20, v[2:3]
	s_add_u32 s20, s20, 8
	s_addc_u32 s21, s21, 0
	s_add_u32 s22, s22, 1
	s_addc_u32 s23, s23, 0
	v_or_b32_e32 v25, v7, v25
	s_cmp_lg_u32 s24, 0
	v_or_b32_e32 v26, v8, v26
	s_cbranch_scc1 .LBB3_603
	s_branch .LBB3_606
.LBB3_604:                              ;   in Loop: Header=BB3_553 Depth=1
	s_branch .LBB3_607
.LBB3_605:                              ;   in Loop: Header=BB3_553 Depth=1
	v_mov_b32_e32 v25, 0
	v_mov_b32_e32 v26, 0
.LBB3_606:                              ;   in Loop: Header=BB3_553 Depth=1
	s_cbranch_execnz .LBB3_608
.LBB3_607:                              ;   in Loop: Header=BB3_553 Depth=1
	global_load_dwordx2 v[25:26], v3, s[4:5]
.LBB3_608:                              ;   in Loop: Header=BB3_553 Depth=1
	v_readfirstlane_b32 s4, v51
	v_mov_b32_e32 v7, 0
	v_mov_b32_e32 v8, 0
	v_cmp_eq_u32_e64 s[4:5], s4, v51
	s_and_saveexec_b64 s[20:21], s[4:5]
	s_cbranch_execz .LBB3_614
; %bb.609:                              ;   in Loop: Header=BB3_553 Depth=1
	global_load_dwordx2 v[29:30], v3, s[44:45] offset:24 glc
	s_waitcnt vmcnt(0)
	buffer_wbinvl1_vol
	global_load_dwordx2 v[7:8], v3, s[44:45] offset:40
	global_load_dwordx2 v[27:28], v3, s[44:45]
	s_waitcnt vmcnt(1)
	v_and_b32_e32 v2, v7, v29
	v_and_b32_e32 v7, v8, v30
	v_mul_lo_u32 v7, v7, 24
	v_mul_hi_u32 v8, v2, 24
	v_mul_lo_u32 v2, v2, 24
	v_add_u32_e32 v8, v8, v7
	s_waitcnt vmcnt(0)
	v_add_co_u32_e32 v7, vcc, v27, v2
	v_addc_co_u32_e32 v8, vcc, v28, v8, vcc
	global_load_dwordx2 v[27:28], v[7:8], off glc
	s_waitcnt vmcnt(0)
	global_atomic_cmpswap_x2 v[7:8], v3, v[27:30], s[44:45] offset:24 glc
	s_waitcnt vmcnt(0)
	buffer_wbinvl1_vol
	v_cmp_ne_u64_e32 vcc, v[7:8], v[29:30]
	s_and_saveexec_b64 s[22:23], vcc
	s_cbranch_execz .LBB3_613
; %bb.610:                              ;   in Loop: Header=BB3_553 Depth=1
	s_mov_b64 s[24:25], 0
.LBB3_611:                              ;   Parent Loop BB3_553 Depth=1
                                        ; =>  This Inner Loop Header: Depth=2
	s_sleep 1
	global_load_dwordx2 v[27:28], v3, s[44:45] offset:40
	global_load_dwordx2 v[31:32], v3, s[44:45]
	v_mov_b32_e32 v30, v8
	v_mov_b32_e32 v29, v7
	s_waitcnt vmcnt(1)
	v_and_b32_e32 v2, v27, v29
	s_waitcnt vmcnt(0)
	v_mad_u64_u32 v[7:8], s[26:27], v2, 24, v[31:32]
	v_and_b32_e32 v27, v28, v30
	v_mov_b32_e32 v2, v8
	v_mad_u64_u32 v[27:28], s[26:27], v27, 24, v[2:3]
	v_mov_b32_e32 v8, v27
	global_load_dwordx2 v[27:28], v[7:8], off glc
	s_waitcnt vmcnt(0)
	global_atomic_cmpswap_x2 v[7:8], v3, v[27:30], s[44:45] offset:24 glc
	s_waitcnt vmcnt(0)
	buffer_wbinvl1_vol
	v_cmp_eq_u64_e32 vcc, v[7:8], v[29:30]
	s_or_b64 s[24:25], vcc, s[24:25]
	s_andn2_b64 exec, exec, s[24:25]
	s_cbranch_execnz .LBB3_611
; %bb.612:                              ;   in Loop: Header=BB3_553 Depth=1
	s_or_b64 exec, exec, s[24:25]
.LBB3_613:                              ;   in Loop: Header=BB3_553 Depth=1
	s_or_b64 exec, exec, s[22:23]
.LBB3_614:                              ;   in Loop: Header=BB3_553 Depth=1
	s_or_b64 exec, exec, s[20:21]
	global_load_dwordx2 v[31:32], v3, s[44:45] offset:40
	global_load_dwordx4 v[27:30], v3, s[44:45]
	v_readfirstlane_b32 s20, v7
	v_readfirstlane_b32 s21, v8
	s_mov_b64 s[22:23], exec
	s_waitcnt vmcnt(1)
	v_readfirstlane_b32 s24, v31
	v_readfirstlane_b32 s25, v32
	s_and_b64 s[24:25], s[20:21], s[24:25]
	s_mul_i32 s15, s25, 24
	s_mul_hi_u32 s26, s24, 24
	s_mul_i32 s27, s24, 24
	s_add_i32 s15, s26, s15
	v_mov_b32_e32 v2, s15
	s_waitcnt vmcnt(0)
	v_add_co_u32_e32 v31, vcc, s27, v27
	v_addc_co_u32_e32 v32, vcc, v28, v2, vcc
	s_and_saveexec_b64 s[26:27], s[4:5]
	s_cbranch_execz .LBB3_616
; %bb.615:                              ;   in Loop: Header=BB3_553 Depth=1
	v_mov_b32_e32 v7, s22
	v_mov_b32_e32 v8, s23
	global_store_dwordx4 v[31:32], v[7:10], off offset:8
.LBB3_616:                              ;   in Loop: Header=BB3_553 Depth=1
	s_or_b64 exec, exec, s[26:27]
	s_lshl_b64 s[22:23], s[24:25], 12
	v_mov_b32_e32 v2, s23
	v_add_co_u32_e32 v29, vcc, s22, v29
	v_addc_co_u32_e32 v30, vcc, v30, v2, vcc
	v_cmp_gt_u64_e64 vcc, s[16:17], 56
	v_or_b32_e32 v2, 2, v11
	s_lshl_b32 s15, s18, 2
	v_cndmask_b32_e32 v2, v2, v11, vcc
	s_add_i32 s15, s15, 28
	s_and_b32 s15, s15, 0x1e0
	v_and_b32_e32 v2, 0xffffff1f, v2
	v_or_b32_e32 v11, s15, v2
	v_readfirstlane_b32 s22, v29
	v_readfirstlane_b32 s23, v30
	s_nop 4
	global_store_dwordx4 v50, v[11:14], s[22:23]
	global_store_dwordx4 v50, v[15:18], s[22:23] offset:16
	global_store_dwordx4 v50, v[19:22], s[22:23] offset:32
	;; [unrolled: 1-line block ×3, first 2 shown]
	s_and_saveexec_b64 s[22:23], s[4:5]
	s_cbranch_execz .LBB3_624
; %bb.617:                              ;   in Loop: Header=BB3_553 Depth=1
	global_load_dwordx2 v[15:16], v3, s[44:45] offset:32 glc
	global_load_dwordx2 v[7:8], v3, s[44:45] offset:40
	v_mov_b32_e32 v13, s20
	v_mov_b32_e32 v14, s21
	s_waitcnt vmcnt(0)
	v_readfirstlane_b32 s24, v7
	v_readfirstlane_b32 s25, v8
	s_and_b64 s[24:25], s[24:25], s[20:21]
	s_mul_i32 s15, s25, 24
	s_mul_hi_u32 s25, s24, 24
	s_mul_i32 s24, s24, 24
	s_add_i32 s15, s25, s15
	v_mov_b32_e32 v2, s15
	v_add_co_u32_e32 v7, vcc, s24, v27
	v_addc_co_u32_e32 v8, vcc, v28, v2, vcc
	global_store_dwordx2 v[7:8], v[15:16], off
	s_waitcnt vmcnt(0)
	global_atomic_cmpswap_x2 v[13:14], v3, v[13:16], s[44:45] offset:32 glc
	s_waitcnt vmcnt(0)
	v_cmp_ne_u64_e32 vcc, v[13:14], v[15:16]
	s_and_saveexec_b64 s[24:25], vcc
	s_cbranch_execz .LBB3_620
; %bb.618:                              ;   in Loop: Header=BB3_553 Depth=1
	s_mov_b64 s[26:27], 0
.LBB3_619:                              ;   Parent Loop BB3_553 Depth=1
                                        ; =>  This Inner Loop Header: Depth=2
	s_sleep 1
	global_store_dwordx2 v[7:8], v[13:14], off
	v_mov_b32_e32 v11, s20
	v_mov_b32_e32 v12, s21
	s_waitcnt vmcnt(0)
	global_atomic_cmpswap_x2 v[11:12], v3, v[11:14], s[44:45] offset:32 glc
	s_waitcnt vmcnt(0)
	v_cmp_eq_u64_e32 vcc, v[11:12], v[13:14]
	v_mov_b32_e32 v14, v12
	s_or_b64 s[26:27], vcc, s[26:27]
	v_mov_b32_e32 v13, v11
	s_andn2_b64 exec, exec, s[26:27]
	s_cbranch_execnz .LBB3_619
.LBB3_620:                              ;   in Loop: Header=BB3_553 Depth=1
	s_or_b64 exec, exec, s[24:25]
	global_load_dwordx2 v[7:8], v3, s[44:45] offset:16
	s_mov_b64 s[26:27], exec
	v_mbcnt_lo_u32_b32 v2, s26, 0
	v_mbcnt_hi_u32_b32 v2, s27, v2
	v_cmp_eq_u32_e32 vcc, 0, v2
	s_and_saveexec_b64 s[24:25], vcc
	s_cbranch_execz .LBB3_622
; %bb.621:                              ;   in Loop: Header=BB3_553 Depth=1
	s_bcnt1_i32_b64 s15, s[26:27]
	v_mov_b32_e32 v2, s15
	s_waitcnt vmcnt(0)
	global_atomic_add_x2 v[7:8], v[2:3], off offset:8
.LBB3_622:                              ;   in Loop: Header=BB3_553 Depth=1
	s_or_b64 exec, exec, s[24:25]
	s_waitcnt vmcnt(0)
	global_load_dwordx2 v[11:12], v[7:8], off offset:16
	s_waitcnt vmcnt(0)
	v_cmp_eq_u64_e32 vcc, 0, v[11:12]
	s_cbranch_vccnz .LBB3_624
; %bb.623:                              ;   in Loop: Header=BB3_553 Depth=1
	global_load_dword v2, v[7:8], off offset:24
	s_waitcnt vmcnt(0)
	global_store_dwordx2 v[11:12], v[2:3], off
	v_and_b32_e32 v2, 0xffffff, v2
	v_readfirstlane_b32 m0, v2
	s_sendmsg sendmsg(MSG_INTERRUPT)
.LBB3_624:                              ;   in Loop: Header=BB3_553 Depth=1
	s_or_b64 exec, exec, s[22:23]
	v_add_co_u32_e32 v7, vcc, v29, v50
	v_addc_co_u32_e32 v8, vcc, 0, v30, vcc
	s_branch .LBB3_628
.LBB3_625:                              ;   in Loop: Header=BB3_628 Depth=2
	s_or_b64 exec, exec, s[22:23]
	v_readfirstlane_b32 s15, v2
	s_cmp_eq_u32 s15, 0
	s_cbranch_scc1 .LBB3_627
; %bb.626:                              ;   in Loop: Header=BB3_628 Depth=2
	s_sleep 1
	s_cbranch_execnz .LBB3_628
	s_branch .LBB3_630
.LBB3_627:                              ;   in Loop: Header=BB3_553 Depth=1
	s_branch .LBB3_630
.LBB3_628:                              ;   Parent Loop BB3_553 Depth=1
                                        ; =>  This Inner Loop Header: Depth=2
	v_mov_b32_e32 v2, 1
	s_and_saveexec_b64 s[22:23], s[4:5]
	s_cbranch_execz .LBB3_625
; %bb.629:                              ;   in Loop: Header=BB3_628 Depth=2
	global_load_dword v2, v[31:32], off offset:20 glc
	s_waitcnt vmcnt(0)
	buffer_wbinvl1_vol
	v_and_b32_e32 v2, 1, v2
	s_branch .LBB3_625
.LBB3_630:                              ;   in Loop: Header=BB3_553 Depth=1
	global_load_dwordx4 v[11:14], v[7:8], off
	s_and_saveexec_b64 s[22:23], s[4:5]
	s_cbranch_execz .LBB3_552
; %bb.631:                              ;   in Loop: Header=BB3_553 Depth=1
	global_load_dwordx2 v[7:8], v3, s[44:45] offset:40
	global_load_dwordx2 v[17:18], v3, s[44:45] offset:24 glc
	global_load_dwordx2 v[19:20], v3, s[44:45]
	v_mov_b32_e32 v2, s21
	s_waitcnt vmcnt(2)
	v_add_co_u32_e32 v15, vcc, 1, v7
	v_addc_co_u32_e32 v16, vcc, 0, v8, vcc
	v_add_co_u32_e32 v13, vcc, s20, v15
	v_addc_co_u32_e32 v14, vcc, v16, v2, vcc
	v_cmp_eq_u64_e32 vcc, 0, v[13:14]
	v_cndmask_b32_e32 v14, v14, v16, vcc
	v_cndmask_b32_e32 v13, v13, v15, vcc
	v_and_b32_e32 v2, v14, v8
	v_and_b32_e32 v7, v13, v7
	v_mul_lo_u32 v2, v2, 24
	v_mul_hi_u32 v8, v7, 24
	v_mul_lo_u32 v7, v7, 24
	s_waitcnt vmcnt(1)
	v_mov_b32_e32 v15, v17
	v_mov_b32_e32 v16, v18
	v_add_u32_e32 v2, v8, v2
	s_waitcnt vmcnt(0)
	v_add_co_u32_e32 v7, vcc, v19, v7
	v_addc_co_u32_e32 v8, vcc, v20, v2, vcc
	global_store_dwordx2 v[7:8], v[17:18], off
	s_waitcnt vmcnt(0)
	global_atomic_cmpswap_x2 v[15:16], v3, v[13:16], s[44:45] offset:24 glc
	s_waitcnt vmcnt(0)
	v_cmp_ne_u64_e32 vcc, v[15:16], v[17:18]
	s_and_b64 exec, exec, vcc
	s_cbranch_execz .LBB3_552
; %bb.632:                              ;   in Loop: Header=BB3_553 Depth=1
	s_mov_b64 s[4:5], 0
.LBB3_633:                              ;   Parent Loop BB3_553 Depth=1
                                        ; =>  This Inner Loop Header: Depth=2
	s_sleep 1
	global_store_dwordx2 v[7:8], v[15:16], off
	s_waitcnt vmcnt(0)
	global_atomic_cmpswap_x2 v[17:18], v3, v[13:16], s[44:45] offset:24 glc
	s_waitcnt vmcnt(0)
	v_cmp_eq_u64_e32 vcc, v[17:18], v[15:16]
	v_mov_b32_e32 v15, v17
	s_or_b64 s[4:5], vcc, s[4:5]
	v_mov_b32_e32 v16, v18
	s_andn2_b64 exec, exec, s[4:5]
	s_cbranch_execnz .LBB3_633
	s_branch .LBB3_552
.LBB3_634:
	s_branch .LBB3_662
.LBB3_635:
	s_cbranch_execz .LBB3_662
; %bb.636:
	v_readfirstlane_b32 s4, v51
	s_waitcnt vmcnt(0)
	v_mov_b32_e32 v11, 0
	v_mov_b32_e32 v12, 0
	v_cmp_eq_u32_e64 s[4:5], s4, v51
	s_and_saveexec_b64 s[10:11], s[4:5]
	s_cbranch_execz .LBB3_642
; %bb.637:
	v_mov_b32_e32 v2, 0
	global_load_dwordx2 v[9:10], v2, s[44:45] offset:24 glc
	s_waitcnt vmcnt(0)
	buffer_wbinvl1_vol
	global_load_dwordx2 v[7:8], v2, s[44:45] offset:40
	global_load_dwordx2 v[11:12], v2, s[44:45]
	s_waitcnt vmcnt(1)
	v_and_b32_e32 v3, v7, v9
	v_and_b32_e32 v7, v8, v10
	v_mul_lo_u32 v7, v7, 24
	v_mul_hi_u32 v8, v3, 24
	v_mul_lo_u32 v3, v3, 24
	v_add_u32_e32 v8, v8, v7
	s_waitcnt vmcnt(0)
	v_add_co_u32_e32 v7, vcc, v11, v3
	v_addc_co_u32_e32 v8, vcc, v12, v8, vcc
	global_load_dwordx2 v[7:8], v[7:8], off glc
	s_waitcnt vmcnt(0)
	global_atomic_cmpswap_x2 v[11:12], v2, v[7:10], s[44:45] offset:24 glc
	s_waitcnt vmcnt(0)
	buffer_wbinvl1_vol
	v_cmp_ne_u64_e32 vcc, v[11:12], v[9:10]
	s_and_saveexec_b64 s[16:17], vcc
	s_cbranch_execz .LBB3_641
; %bb.638:
	s_mov_b64 s[18:19], 0
.LBB3_639:                              ; =>This Inner Loop Header: Depth=1
	s_sleep 1
	global_load_dwordx2 v[7:8], v2, s[44:45] offset:40
	global_load_dwordx2 v[13:14], v2, s[44:45]
	v_mov_b32_e32 v9, v11
	v_mov_b32_e32 v10, v12
	s_waitcnt vmcnt(1)
	v_and_b32_e32 v3, v7, v9
	s_waitcnt vmcnt(0)
	v_mad_u64_u32 v[11:12], s[20:21], v3, 24, v[13:14]
	v_and_b32_e32 v7, v8, v10
	v_mov_b32_e32 v3, v12
	v_mad_u64_u32 v[7:8], s[20:21], v7, 24, v[3:4]
	v_mov_b32_e32 v12, v7
	global_load_dwordx2 v[7:8], v[11:12], off glc
	s_waitcnt vmcnt(0)
	global_atomic_cmpswap_x2 v[11:12], v2, v[7:10], s[44:45] offset:24 glc
	s_waitcnt vmcnt(0)
	buffer_wbinvl1_vol
	v_cmp_eq_u64_e32 vcc, v[11:12], v[9:10]
	s_or_b64 s[18:19], vcc, s[18:19]
	s_andn2_b64 exec, exec, s[18:19]
	s_cbranch_execnz .LBB3_639
; %bb.640:
	s_or_b64 exec, exec, s[18:19]
.LBB3_641:
	s_or_b64 exec, exec, s[16:17]
.LBB3_642:
	s_or_b64 exec, exec, s[10:11]
	v_mov_b32_e32 v2, 0
	global_load_dwordx2 v[13:14], v2, s[44:45] offset:40
	global_load_dwordx4 v[7:10], v2, s[44:45]
	v_readfirstlane_b32 s10, v11
	v_readfirstlane_b32 s11, v12
	s_mov_b64 s[16:17], exec
	s_waitcnt vmcnt(1)
	v_readfirstlane_b32 s18, v13
	v_readfirstlane_b32 s19, v14
	s_and_b64 s[18:19], s[10:11], s[18:19]
	s_mul_i32 s15, s19, 24
	s_mul_hi_u32 s20, s18, 24
	s_mul_i32 s21, s18, 24
	s_add_i32 s15, s20, s15
	v_mov_b32_e32 v3, s15
	s_waitcnt vmcnt(0)
	v_add_co_u32_e32 v11, vcc, s21, v7
	v_addc_co_u32_e32 v12, vcc, v8, v3, vcc
	s_and_saveexec_b64 s[20:21], s[4:5]
	s_cbranch_execz .LBB3_644
; %bb.643:
	v_mov_b32_e32 v13, s16
	v_mov_b32_e32 v14, s17
	;; [unrolled: 1-line block ×4, first 2 shown]
	global_store_dwordx4 v[11:12], v[13:16], off offset:8
.LBB3_644:
	s_or_b64 exec, exec, s[20:21]
	s_lshl_b64 s[16:17], s[18:19], 12
	v_mov_b32_e32 v3, s17
	v_add_co_u32_e32 v9, vcc, s16, v9
	v_addc_co_u32_e32 v10, vcc, v10, v3, vcc
	s_movk_i32 s15, 0xff1d
	v_and_or_b32 v0, v0, s15, 34
	s_mov_b32 s16, 0
	v_mov_b32_e32 v3, v2
	v_readfirstlane_b32 s20, v9
	v_readfirstlane_b32 s21, v10
	s_mov_b32 s17, s16
	s_mov_b32 s18, s16
	;; [unrolled: 1-line block ×3, first 2 shown]
	s_nop 1
	global_store_dwordx4 v50, v[0:3], s[20:21]
	s_nop 0
	v_mov_b32_e32 v0, s16
	v_mov_b32_e32 v1, s17
	;; [unrolled: 1-line block ×4, first 2 shown]
	global_store_dwordx4 v50, v[0:3], s[20:21] offset:16
	global_store_dwordx4 v50, v[0:3], s[20:21] offset:32
	;; [unrolled: 1-line block ×3, first 2 shown]
	s_and_saveexec_b64 s[16:17], s[4:5]
	s_cbranch_execz .LBB3_652
; %bb.645:
	v_mov_b32_e32 v9, 0
	global_load_dwordx2 v[15:16], v9, s[44:45] offset:32 glc
	global_load_dwordx2 v[0:1], v9, s[44:45] offset:40
	v_mov_b32_e32 v13, s10
	v_mov_b32_e32 v14, s11
	s_waitcnt vmcnt(0)
	v_readfirstlane_b32 s18, v0
	v_readfirstlane_b32 s19, v1
	s_and_b64 s[18:19], s[18:19], s[10:11]
	s_mul_i32 s15, s19, 24
	s_mul_hi_u32 s19, s18, 24
	s_mul_i32 s18, s18, 24
	s_add_i32 s15, s19, s15
	v_mov_b32_e32 v0, s15
	v_add_co_u32_e32 v7, vcc, s18, v7
	v_addc_co_u32_e32 v8, vcc, v8, v0, vcc
	global_store_dwordx2 v[7:8], v[15:16], off
	s_waitcnt vmcnt(0)
	global_atomic_cmpswap_x2 v[2:3], v9, v[13:16], s[44:45] offset:32 glc
	s_waitcnt vmcnt(0)
	v_cmp_ne_u64_e32 vcc, v[2:3], v[15:16]
	s_and_saveexec_b64 s[18:19], vcc
	s_cbranch_execz .LBB3_648
; %bb.646:
	s_mov_b64 s[20:21], 0
.LBB3_647:                              ; =>This Inner Loop Header: Depth=1
	s_sleep 1
	global_store_dwordx2 v[7:8], v[2:3], off
	v_mov_b32_e32 v0, s10
	v_mov_b32_e32 v1, s11
	s_waitcnt vmcnt(0)
	global_atomic_cmpswap_x2 v[0:1], v9, v[0:3], s[44:45] offset:32 glc
	s_waitcnt vmcnt(0)
	v_cmp_eq_u64_e32 vcc, v[0:1], v[2:3]
	v_mov_b32_e32 v3, v1
	s_or_b64 s[20:21], vcc, s[20:21]
	v_mov_b32_e32 v2, v0
	s_andn2_b64 exec, exec, s[20:21]
	s_cbranch_execnz .LBB3_647
.LBB3_648:
	s_or_b64 exec, exec, s[18:19]
	v_mov_b32_e32 v3, 0
	global_load_dwordx2 v[0:1], v3, s[44:45] offset:16
	s_mov_b64 s[18:19], exec
	v_mbcnt_lo_u32_b32 v2, s18, 0
	v_mbcnt_hi_u32_b32 v2, s19, v2
	v_cmp_eq_u32_e32 vcc, 0, v2
	s_and_saveexec_b64 s[20:21], vcc
	s_cbranch_execz .LBB3_650
; %bb.649:
	s_bcnt1_i32_b64 s15, s[18:19]
	v_mov_b32_e32 v2, s15
	s_waitcnt vmcnt(0)
	global_atomic_add_x2 v[0:1], v[2:3], off offset:8
.LBB3_650:
	s_or_b64 exec, exec, s[20:21]
	s_waitcnt vmcnt(0)
	global_load_dwordx2 v[2:3], v[0:1], off offset:16
	s_waitcnt vmcnt(0)
	v_cmp_eq_u64_e32 vcc, 0, v[2:3]
	s_cbranch_vccnz .LBB3_652
; %bb.651:
	global_load_dword v0, v[0:1], off offset:24
	v_mov_b32_e32 v1, 0
	s_waitcnt vmcnt(0)
	global_store_dwordx2 v[2:3], v[0:1], off
	v_and_b32_e32 v0, 0xffffff, v0
	v_readfirstlane_b32 m0, v0
	s_sendmsg sendmsg(MSG_INTERRUPT)
.LBB3_652:
	s_or_b64 exec, exec, s[16:17]
	s_branch .LBB3_656
.LBB3_653:                              ;   in Loop: Header=BB3_656 Depth=1
	s_or_b64 exec, exec, s[16:17]
	v_readfirstlane_b32 s15, v0
	s_cmp_eq_u32 s15, 0
	s_cbranch_scc1 .LBB3_655
; %bb.654:                              ;   in Loop: Header=BB3_656 Depth=1
	s_sleep 1
	s_cbranch_execnz .LBB3_656
	s_branch .LBB3_658
.LBB3_655:
	s_branch .LBB3_658
.LBB3_656:                              ; =>This Inner Loop Header: Depth=1
	v_mov_b32_e32 v0, 1
	s_and_saveexec_b64 s[16:17], s[4:5]
	s_cbranch_execz .LBB3_653
; %bb.657:                              ;   in Loop: Header=BB3_656 Depth=1
	global_load_dword v0, v[11:12], off offset:20 glc
	s_waitcnt vmcnt(0)
	buffer_wbinvl1_vol
	v_and_b32_e32 v0, 1, v0
	s_branch .LBB3_653
.LBB3_658:
	s_and_saveexec_b64 s[16:17], s[4:5]
	s_cbranch_execz .LBB3_661
; %bb.659:
	v_mov_b32_e32 v9, 0
	global_load_dwordx2 v[2:3], v9, s[44:45] offset:40
	global_load_dwordx2 v[10:11], v9, s[44:45] offset:24 glc
	global_load_dwordx2 v[7:8], v9, s[44:45]
	v_mov_b32_e32 v1, s11
	s_mov_b64 s[4:5], 0
	s_waitcnt vmcnt(2)
	v_add_co_u32_e32 v12, vcc, 1, v2
	v_addc_co_u32_e32 v13, vcc, 0, v3, vcc
	v_add_co_u32_e32 v0, vcc, s10, v12
	v_addc_co_u32_e32 v1, vcc, v13, v1, vcc
	v_cmp_eq_u64_e32 vcc, 0, v[0:1]
	v_cndmask_b32_e32 v1, v1, v13, vcc
	v_cndmask_b32_e32 v0, v0, v12, vcc
	v_and_b32_e32 v3, v1, v3
	v_and_b32_e32 v2, v0, v2
	v_mul_lo_u32 v3, v3, 24
	v_mul_hi_u32 v12, v2, 24
	v_mul_lo_u32 v13, v2, 24
	s_waitcnt vmcnt(1)
	v_mov_b32_e32 v2, v10
	v_add_u32_e32 v3, v12, v3
	s_waitcnt vmcnt(0)
	v_add_co_u32_e32 v7, vcc, v7, v13
	v_addc_co_u32_e32 v8, vcc, v8, v3, vcc
	global_store_dwordx2 v[7:8], v[10:11], off
	v_mov_b32_e32 v3, v11
	s_waitcnt vmcnt(0)
	global_atomic_cmpswap_x2 v[2:3], v9, v[0:3], s[44:45] offset:24 glc
	s_waitcnt vmcnt(0)
	v_cmp_ne_u64_e32 vcc, v[2:3], v[10:11]
	s_and_b64 exec, exec, vcc
	s_cbranch_execz .LBB3_661
.LBB3_660:                              ; =>This Inner Loop Header: Depth=1
	s_sleep 1
	global_store_dwordx2 v[7:8], v[2:3], off
	s_waitcnt vmcnt(0)
	global_atomic_cmpswap_x2 v[10:11], v9, v[0:3], s[44:45] offset:24 glc
	s_waitcnt vmcnt(0)
	v_cmp_eq_u64_e32 vcc, v[10:11], v[2:3]
	v_mov_b32_e32 v2, v10
	s_or_b64 s[4:5], vcc, s[4:5]
	v_mov_b32_e32 v3, v11
	s_andn2_b64 exec, exec, s[4:5]
	s_cbranch_execnz .LBB3_660
.LBB3_661:
	s_or_b64 exec, exec, s[16:17]
.LBB3_662:
	v_readfirstlane_b32 s4, v51
	v_mov_b32_e32 v9, 0
	v_mov_b32_e32 v10, 0
	v_cmp_eq_u32_e64 s[4:5], s4, v51
	s_and_saveexec_b64 s[10:11], s[4:5]
	s_cbranch_execz .LBB3_668
; %bb.663:
	s_waitcnt vmcnt(0)
	v_mov_b32_e32 v0, 0
	global_load_dwordx2 v[11:12], v0, s[44:45] offset:24 glc
	s_waitcnt vmcnt(0)
	buffer_wbinvl1_vol
	global_load_dwordx2 v[1:2], v0, s[44:45] offset:40
	global_load_dwordx2 v[7:8], v0, s[44:45]
	s_waitcnt vmcnt(1)
	v_and_b32_e32 v1, v1, v11
	v_and_b32_e32 v2, v2, v12
	v_mul_lo_u32 v2, v2, 24
	v_mul_hi_u32 v3, v1, 24
	v_mul_lo_u32 v1, v1, 24
	v_add_u32_e32 v2, v3, v2
	s_waitcnt vmcnt(0)
	v_add_co_u32_e32 v1, vcc, v7, v1
	v_addc_co_u32_e32 v2, vcc, v8, v2, vcc
	global_load_dwordx2 v[9:10], v[1:2], off glc
	s_waitcnt vmcnt(0)
	global_atomic_cmpswap_x2 v[9:10], v0, v[9:12], s[44:45] offset:24 glc
	s_waitcnt vmcnt(0)
	buffer_wbinvl1_vol
	v_cmp_ne_u64_e32 vcc, v[9:10], v[11:12]
	s_and_saveexec_b64 s[16:17], vcc
	s_cbranch_execz .LBB3_667
; %bb.664:
	s_mov_b64 s[18:19], 0
.LBB3_665:                              ; =>This Inner Loop Header: Depth=1
	s_sleep 1
	global_load_dwordx2 v[1:2], v0, s[44:45] offset:40
	global_load_dwordx2 v[7:8], v0, s[44:45]
	v_mov_b32_e32 v12, v10
	v_mov_b32_e32 v11, v9
	s_waitcnt vmcnt(1)
	v_and_b32_e32 v1, v1, v11
	s_waitcnt vmcnt(0)
	v_mad_u64_u32 v[7:8], s[20:21], v1, 24, v[7:8]
	v_and_b32_e32 v2, v2, v12
	v_mov_b32_e32 v1, v8
	v_mad_u64_u32 v[1:2], s[20:21], v2, 24, v[1:2]
	v_mov_b32_e32 v8, v1
	global_load_dwordx2 v[9:10], v[7:8], off glc
	s_waitcnt vmcnt(0)
	global_atomic_cmpswap_x2 v[9:10], v0, v[9:12], s[44:45] offset:24 glc
	s_waitcnt vmcnt(0)
	buffer_wbinvl1_vol
	v_cmp_eq_u64_e32 vcc, v[9:10], v[11:12]
	s_or_b64 s[18:19], vcc, s[18:19]
	s_andn2_b64 exec, exec, s[18:19]
	s_cbranch_execnz .LBB3_665
; %bb.666:
	s_or_b64 exec, exec, s[18:19]
.LBB3_667:
	s_or_b64 exec, exec, s[16:17]
.LBB3_668:
	s_or_b64 exec, exec, s[10:11]
	s_waitcnt vmcnt(0)
	v_mov_b32_e32 v8, 0
	global_load_dwordx2 v[11:12], v8, s[44:45] offset:40
	global_load_dwordx4 v[0:3], v8, s[44:45]
	v_readfirstlane_b32 s10, v9
	v_readfirstlane_b32 s11, v10
	s_mov_b64 s[16:17], exec
	s_waitcnt vmcnt(1)
	v_readfirstlane_b32 s18, v11
	v_readfirstlane_b32 s19, v12
	s_and_b64 s[18:19], s[10:11], s[18:19]
	s_mul_i32 s15, s19, 24
	s_mul_hi_u32 s20, s18, 24
	s_mul_i32 s21, s18, 24
	s_add_i32 s15, s20, s15
	v_mov_b32_e32 v7, s15
	s_waitcnt vmcnt(0)
	v_add_co_u32_e32 v11, vcc, s21, v0
	v_addc_co_u32_e32 v12, vcc, v1, v7, vcc
	s_and_saveexec_b64 s[20:21], s[4:5]
	s_cbranch_execz .LBB3_670
; %bb.669:
	v_mov_b32_e32 v13, s16
	v_mov_b32_e32 v14, s17
	;; [unrolled: 1-line block ×4, first 2 shown]
	global_store_dwordx4 v[11:12], v[13:16], off offset:8
.LBB3_670:
	s_or_b64 exec, exec, s[20:21]
	s_lshl_b64 s[16:17], s[18:19], 12
	v_mov_b32_e32 v7, s17
	v_add_co_u32_e32 v2, vcc, s16, v2
	v_addc_co_u32_e32 v3, vcc, v3, v7, vcc
	s_mov_b32 s16, 0
	v_mov_b32_e32 v7, 33
	v_mov_b32_e32 v9, v8
	;; [unrolled: 1-line block ×3, first 2 shown]
	v_readfirstlane_b32 s20, v2
	v_readfirstlane_b32 s21, v3
	v_add_co_u32_e32 v13, vcc, v2, v50
	s_mov_b32 s17, s16
	s_mov_b32 s18, s16
	;; [unrolled: 1-line block ×3, first 2 shown]
	s_nop 0
	global_store_dwordx4 v50, v[7:10], s[20:21]
	v_addc_co_u32_e32 v14, vcc, 0, v3, vcc
	v_mov_b32_e32 v7, s16
	v_mov_b32_e32 v8, s17
	v_mov_b32_e32 v9, s18
	v_mov_b32_e32 v10, s19
	global_store_dwordx4 v50, v[7:10], s[20:21] offset:16
	global_store_dwordx4 v50, v[7:10], s[20:21] offset:32
	;; [unrolled: 1-line block ×3, first 2 shown]
	s_and_saveexec_b64 s[16:17], s[4:5]
	s_cbranch_execz .LBB3_678
; %bb.671:
	v_mov_b32_e32 v9, 0
	global_load_dwordx2 v[17:18], v9, s[44:45] offset:32 glc
	global_load_dwordx2 v[2:3], v9, s[44:45] offset:40
	v_mov_b32_e32 v15, s10
	v_mov_b32_e32 v16, s11
	s_waitcnt vmcnt(0)
	v_readfirstlane_b32 s18, v2
	v_readfirstlane_b32 s19, v3
	s_and_b64 s[18:19], s[18:19], s[10:11]
	s_mul_i32 s15, s19, 24
	s_mul_hi_u32 s19, s18, 24
	s_mul_i32 s18, s18, 24
	s_add_i32 s15, s19, s15
	v_mov_b32_e32 v2, s15
	v_add_co_u32_e32 v7, vcc, s18, v0
	v_addc_co_u32_e32 v8, vcc, v1, v2, vcc
	global_store_dwordx2 v[7:8], v[17:18], off
	s_waitcnt vmcnt(0)
	global_atomic_cmpswap_x2 v[2:3], v9, v[15:18], s[44:45] offset:32 glc
	s_waitcnt vmcnt(0)
	v_cmp_ne_u64_e32 vcc, v[2:3], v[17:18]
	s_and_saveexec_b64 s[18:19], vcc
	s_cbranch_execz .LBB3_674
; %bb.672:
	s_mov_b64 s[20:21], 0
.LBB3_673:                              ; =>This Inner Loop Header: Depth=1
	s_sleep 1
	global_store_dwordx2 v[7:8], v[2:3], off
	v_mov_b32_e32 v0, s10
	v_mov_b32_e32 v1, s11
	s_waitcnt vmcnt(0)
	global_atomic_cmpswap_x2 v[0:1], v9, v[0:3], s[44:45] offset:32 glc
	s_waitcnt vmcnt(0)
	v_cmp_eq_u64_e32 vcc, v[0:1], v[2:3]
	v_mov_b32_e32 v3, v1
	s_or_b64 s[20:21], vcc, s[20:21]
	v_mov_b32_e32 v2, v0
	s_andn2_b64 exec, exec, s[20:21]
	s_cbranch_execnz .LBB3_673
.LBB3_674:
	s_or_b64 exec, exec, s[18:19]
	v_mov_b32_e32 v3, 0
	global_load_dwordx2 v[0:1], v3, s[44:45] offset:16
	s_mov_b64 s[18:19], exec
	v_mbcnt_lo_u32_b32 v2, s18, 0
	v_mbcnt_hi_u32_b32 v2, s19, v2
	v_cmp_eq_u32_e32 vcc, 0, v2
	s_and_saveexec_b64 s[20:21], vcc
	s_cbranch_execz .LBB3_676
; %bb.675:
	s_bcnt1_i32_b64 s15, s[18:19]
	v_mov_b32_e32 v2, s15
	s_waitcnt vmcnt(0)
	global_atomic_add_x2 v[0:1], v[2:3], off offset:8
.LBB3_676:
	s_or_b64 exec, exec, s[20:21]
	s_waitcnt vmcnt(0)
	global_load_dwordx2 v[2:3], v[0:1], off offset:16
	s_waitcnt vmcnt(0)
	v_cmp_eq_u64_e32 vcc, 0, v[2:3]
	s_cbranch_vccnz .LBB3_678
; %bb.677:
	global_load_dword v0, v[0:1], off offset:24
	v_mov_b32_e32 v1, 0
	s_waitcnt vmcnt(0)
	global_store_dwordx2 v[2:3], v[0:1], off
	v_and_b32_e32 v0, 0xffffff, v0
	v_readfirstlane_b32 m0, v0
	s_sendmsg sendmsg(MSG_INTERRUPT)
.LBB3_678:
	s_or_b64 exec, exec, s[16:17]
	s_branch .LBB3_682
.LBB3_679:                              ;   in Loop: Header=BB3_682 Depth=1
	s_or_b64 exec, exec, s[16:17]
	v_readfirstlane_b32 s15, v0
	s_cmp_eq_u32 s15, 0
	s_cbranch_scc1 .LBB3_681
; %bb.680:                              ;   in Loop: Header=BB3_682 Depth=1
	s_sleep 1
	s_cbranch_execnz .LBB3_682
	s_branch .LBB3_684
.LBB3_681:
	s_branch .LBB3_684
.LBB3_682:                              ; =>This Inner Loop Header: Depth=1
	v_mov_b32_e32 v0, 1
	s_and_saveexec_b64 s[16:17], s[4:5]
	s_cbranch_execz .LBB3_679
; %bb.683:                              ;   in Loop: Header=BB3_682 Depth=1
	global_load_dword v0, v[11:12], off offset:20 glc
	s_waitcnt vmcnt(0)
	buffer_wbinvl1_vol
	v_and_b32_e32 v0, 1, v0
	s_branch .LBB3_679
.LBB3_684:
	global_load_dwordx2 v[0:1], v[13:14], off
	s_and_saveexec_b64 s[16:17], s[4:5]
	s_cbranch_execz .LBB3_687
; %bb.685:
	v_mov_b32_e32 v11, 0
	global_load_dwordx2 v[2:3], v11, s[44:45] offset:40
	global_load_dwordx2 v[12:13], v11, s[44:45] offset:24 glc
	global_load_dwordx2 v[14:15], v11, s[44:45]
	v_mov_b32_e32 v8, s11
	s_mov_b64 s[4:5], 0
	s_waitcnt vmcnt(2)
	v_add_co_u32_e32 v9, vcc, 1, v2
	v_addc_co_u32_e32 v10, vcc, 0, v3, vcc
	v_add_co_u32_e32 v7, vcc, s10, v9
	v_addc_co_u32_e32 v8, vcc, v10, v8, vcc
	v_cmp_eq_u64_e32 vcc, 0, v[7:8]
	v_cndmask_b32_e32 v8, v8, v10, vcc
	v_cndmask_b32_e32 v7, v7, v9, vcc
	v_and_b32_e32 v3, v8, v3
	v_and_b32_e32 v2, v7, v2
	v_mul_lo_u32 v3, v3, 24
	v_mul_hi_u32 v10, v2, 24
	v_mul_lo_u32 v2, v2, 24
	s_waitcnt vmcnt(1)
	v_mov_b32_e32 v9, v12
	v_add_u32_e32 v3, v10, v3
	s_waitcnt vmcnt(0)
	v_add_co_u32_e32 v2, vcc, v14, v2
	v_addc_co_u32_e32 v3, vcc, v15, v3, vcc
	global_store_dwordx2 v[2:3], v[12:13], off
	v_mov_b32_e32 v10, v13
	s_waitcnt vmcnt(0)
	global_atomic_cmpswap_x2 v[9:10], v11, v[7:10], s[44:45] offset:24 glc
	s_waitcnt vmcnt(0)
	v_cmp_ne_u64_e32 vcc, v[9:10], v[12:13]
	s_and_b64 exec, exec, vcc
	s_cbranch_execz .LBB3_687
.LBB3_686:                              ; =>This Inner Loop Header: Depth=1
	s_sleep 1
	global_store_dwordx2 v[2:3], v[9:10], off
	s_waitcnt vmcnt(0)
	global_atomic_cmpswap_x2 v[12:13], v11, v[7:10], s[44:45] offset:24 glc
	s_waitcnt vmcnt(0)
	v_cmp_eq_u64_e32 vcc, v[12:13], v[9:10]
	v_mov_b32_e32 v9, v12
	s_or_b64 s[4:5], vcc, s[4:5]
	v_mov_b32_e32 v10, v13
	s_andn2_b64 exec, exec, s[4:5]
	s_cbranch_execnz .LBB3_686
.LBB3_687:
	s_or_b64 exec, exec, s[16:17]
	s_and_b64 vcc, exec, s[46:47]
	s_cbranch_vccz .LBB3_772
; %bb.688:
	s_waitcnt vmcnt(0)
	v_and_b32_e32 v35, 2, v0
	v_mov_b32_e32 v3, 0
	v_and_b32_e32 v7, -3, v0
	v_mov_b32_e32 v8, v1
	s_mov_b64 s[16:17], 3
	v_mov_b32_e32 v11, 2
	v_mov_b32_e32 v12, 1
	s_getpc_b64 s[10:11]
	s_add_u32 s10, s10, .str.6@rel32@lo+4
	s_addc_u32 s11, s11, .str.6@rel32@hi+12
	s_branch .LBB3_690
.LBB3_689:                              ;   in Loop: Header=BB3_690 Depth=1
	s_or_b64 exec, exec, s[22:23]
	s_sub_u32 s16, s16, s18
	s_subb_u32 s17, s17, s19
	s_add_u32 s10, s10, s18
	s_addc_u32 s11, s11, s19
	s_cmp_lg_u64 s[16:17], 0
	s_cbranch_scc0 .LBB3_771
.LBB3_690:                              ; =>This Loop Header: Depth=1
                                        ;     Child Loop BB3_693 Depth 2
                                        ;     Child Loop BB3_700 Depth 2
	;; [unrolled: 1-line block ×11, first 2 shown]
	v_cmp_lt_u64_e64 s[4:5], s[16:17], 56
	v_cmp_gt_u64_e64 s[20:21], s[16:17], 7
	s_and_b64 s[4:5], s[4:5], exec
	s_cselect_b32 s19, s17, 0
	s_cselect_b32 s18, s16, 56
	s_and_b64 vcc, exec, s[20:21]
	s_cbranch_vccnz .LBB3_695
; %bb.691:                              ;   in Loop: Header=BB3_690 Depth=1
	v_mov_b32_e32 v15, 0
	s_cmp_eq_u64 s[16:17], 0
	v_mov_b32_e32 v16, 0
	s_mov_b64 s[4:5], 0
	s_cbranch_scc1 .LBB3_694
; %bb.692:                              ;   in Loop: Header=BB3_690 Depth=1
	v_mov_b32_e32 v15, 0
	s_lshl_b64 s[20:21], s[18:19], 3
	s_mov_b64 s[22:23], 0
	v_mov_b32_e32 v16, 0
	s_mov_b64 s[24:25], s[10:11]
.LBB3_693:                              ;   Parent Loop BB3_690 Depth=1
                                        ; =>  This Inner Loop Header: Depth=2
	global_load_ubyte v2, v3, s[24:25]
	s_waitcnt vmcnt(0)
	v_and_b32_e32 v2, 0xffff, v2
	v_lshlrev_b64 v[9:10], s22, v[2:3]
	s_add_u32 s22, s22, 8
	s_addc_u32 s23, s23, 0
	s_add_u32 s24, s24, 1
	s_addc_u32 s25, s25, 0
	v_or_b32_e32 v15, v9, v15
	s_cmp_lg_u32 s20, s22
	v_or_b32_e32 v16, v10, v16
	s_cbranch_scc1 .LBB3_693
.LBB3_694:                              ;   in Loop: Header=BB3_690 Depth=1
	s_mov_b32 s15, 0
	s_andn2_b64 vcc, exec, s[4:5]
	s_mov_b64 s[4:5], s[10:11]
	s_cbranch_vccz .LBB3_696
	s_branch .LBB3_697
.LBB3_695:                              ;   in Loop: Header=BB3_690 Depth=1
                                        ; implicit-def: $vgpr15_vgpr16
                                        ; implicit-def: $sgpr15
	s_mov_b64 s[4:5], s[10:11]
.LBB3_696:                              ;   in Loop: Header=BB3_690 Depth=1
	global_load_dwordx2 v[15:16], v3, s[10:11]
	s_add_i32 s15, s18, -8
	s_add_u32 s4, s10, 8
	s_addc_u32 s5, s11, 0
.LBB3_697:                              ;   in Loop: Header=BB3_690 Depth=1
	s_cmp_gt_u32 s15, 7
	s_cbranch_scc1 .LBB3_701
; %bb.698:                              ;   in Loop: Header=BB3_690 Depth=1
	s_cmp_eq_u32 s15, 0
	s_cbranch_scc1 .LBB3_702
; %bb.699:                              ;   in Loop: Header=BB3_690 Depth=1
	v_mov_b32_e32 v17, 0
	s_mov_b64 s[20:21], 0
	v_mov_b32_e32 v18, 0
	s_mov_b64 s[22:23], 0
.LBB3_700:                              ;   Parent Loop BB3_690 Depth=1
                                        ; =>  This Inner Loop Header: Depth=2
	s_add_u32 s24, s4, s22
	s_addc_u32 s25, s5, s23
	global_load_ubyte v2, v3, s[24:25]
	s_add_u32 s22, s22, 1
	s_addc_u32 s23, s23, 0
	s_waitcnt vmcnt(0)
	v_and_b32_e32 v2, 0xffff, v2
	v_lshlrev_b64 v[9:10], s20, v[2:3]
	s_add_u32 s20, s20, 8
	s_addc_u32 s21, s21, 0
	v_or_b32_e32 v17, v9, v17
	s_cmp_lg_u32 s15, s22
	v_or_b32_e32 v18, v10, v18
	s_cbranch_scc1 .LBB3_700
	s_branch .LBB3_703
.LBB3_701:                              ;   in Loop: Header=BB3_690 Depth=1
                                        ; implicit-def: $vgpr17_vgpr18
                                        ; implicit-def: $sgpr24
	s_branch .LBB3_704
.LBB3_702:                              ;   in Loop: Header=BB3_690 Depth=1
	v_mov_b32_e32 v17, 0
	v_mov_b32_e32 v18, 0
.LBB3_703:                              ;   in Loop: Header=BB3_690 Depth=1
	s_mov_b32 s24, 0
	s_cbranch_execnz .LBB3_705
.LBB3_704:                              ;   in Loop: Header=BB3_690 Depth=1
	global_load_dwordx2 v[17:18], v3, s[4:5]
	s_add_i32 s24, s15, -8
	s_add_u32 s4, s4, 8
	s_addc_u32 s5, s5, 0
.LBB3_705:                              ;   in Loop: Header=BB3_690 Depth=1
	s_cmp_gt_u32 s24, 7
	s_cbranch_scc1 .LBB3_709
; %bb.706:                              ;   in Loop: Header=BB3_690 Depth=1
	s_cmp_eq_u32 s24, 0
	s_cbranch_scc1 .LBB3_710
; %bb.707:                              ;   in Loop: Header=BB3_690 Depth=1
	v_mov_b32_e32 v19, 0
	s_mov_b64 s[20:21], 0
	v_mov_b32_e32 v20, 0
	s_mov_b64 s[22:23], 0
.LBB3_708:                              ;   Parent Loop BB3_690 Depth=1
                                        ; =>  This Inner Loop Header: Depth=2
	s_add_u32 s26, s4, s22
	s_addc_u32 s27, s5, s23
	global_load_ubyte v2, v3, s[26:27]
	s_add_u32 s22, s22, 1
	s_addc_u32 s23, s23, 0
	s_waitcnt vmcnt(0)
	v_and_b32_e32 v2, 0xffff, v2
	v_lshlrev_b64 v[9:10], s20, v[2:3]
	s_add_u32 s20, s20, 8
	s_addc_u32 s21, s21, 0
	v_or_b32_e32 v19, v9, v19
	s_cmp_lg_u32 s24, s22
	v_or_b32_e32 v20, v10, v20
	s_cbranch_scc1 .LBB3_708
	s_branch .LBB3_711
.LBB3_709:                              ;   in Loop: Header=BB3_690 Depth=1
                                        ; implicit-def: $sgpr15
	s_branch .LBB3_712
.LBB3_710:                              ;   in Loop: Header=BB3_690 Depth=1
	v_mov_b32_e32 v19, 0
	v_mov_b32_e32 v20, 0
.LBB3_711:                              ;   in Loop: Header=BB3_690 Depth=1
	s_mov_b32 s15, 0
	s_cbranch_execnz .LBB3_713
.LBB3_712:                              ;   in Loop: Header=BB3_690 Depth=1
	global_load_dwordx2 v[19:20], v3, s[4:5]
	s_add_i32 s15, s24, -8
	s_add_u32 s4, s4, 8
	s_addc_u32 s5, s5, 0
.LBB3_713:                              ;   in Loop: Header=BB3_690 Depth=1
	s_cmp_gt_u32 s15, 7
	s_cbranch_scc1 .LBB3_717
; %bb.714:                              ;   in Loop: Header=BB3_690 Depth=1
	s_cmp_eq_u32 s15, 0
	s_cbranch_scc1 .LBB3_718
; %bb.715:                              ;   in Loop: Header=BB3_690 Depth=1
	v_mov_b32_e32 v21, 0
	s_mov_b64 s[20:21], 0
	v_mov_b32_e32 v22, 0
	s_mov_b64 s[22:23], 0
.LBB3_716:                              ;   Parent Loop BB3_690 Depth=1
                                        ; =>  This Inner Loop Header: Depth=2
	s_add_u32 s24, s4, s22
	s_addc_u32 s25, s5, s23
	global_load_ubyte v2, v3, s[24:25]
	s_add_u32 s22, s22, 1
	s_addc_u32 s23, s23, 0
	s_waitcnt vmcnt(0)
	v_and_b32_e32 v2, 0xffff, v2
	v_lshlrev_b64 v[9:10], s20, v[2:3]
	s_add_u32 s20, s20, 8
	s_addc_u32 s21, s21, 0
	v_or_b32_e32 v21, v9, v21
	s_cmp_lg_u32 s15, s22
	v_or_b32_e32 v22, v10, v22
	s_cbranch_scc1 .LBB3_716
	s_branch .LBB3_719
.LBB3_717:                              ;   in Loop: Header=BB3_690 Depth=1
                                        ; implicit-def: $vgpr21_vgpr22
                                        ; implicit-def: $sgpr24
	s_branch .LBB3_720
.LBB3_718:                              ;   in Loop: Header=BB3_690 Depth=1
	v_mov_b32_e32 v21, 0
	v_mov_b32_e32 v22, 0
.LBB3_719:                              ;   in Loop: Header=BB3_690 Depth=1
	s_mov_b32 s24, 0
	s_cbranch_execnz .LBB3_721
.LBB3_720:                              ;   in Loop: Header=BB3_690 Depth=1
	global_load_dwordx2 v[21:22], v3, s[4:5]
	s_add_i32 s24, s15, -8
	s_add_u32 s4, s4, 8
	s_addc_u32 s5, s5, 0
.LBB3_721:                              ;   in Loop: Header=BB3_690 Depth=1
	s_cmp_gt_u32 s24, 7
	s_cbranch_scc1 .LBB3_725
; %bb.722:                              ;   in Loop: Header=BB3_690 Depth=1
	s_cmp_eq_u32 s24, 0
	s_cbranch_scc1 .LBB3_726
; %bb.723:                              ;   in Loop: Header=BB3_690 Depth=1
	v_mov_b32_e32 v23, 0
	s_mov_b64 s[20:21], 0
	v_mov_b32_e32 v24, 0
	s_mov_b64 s[22:23], 0
.LBB3_724:                              ;   Parent Loop BB3_690 Depth=1
                                        ; =>  This Inner Loop Header: Depth=2
	s_add_u32 s26, s4, s22
	s_addc_u32 s27, s5, s23
	global_load_ubyte v2, v3, s[26:27]
	s_add_u32 s22, s22, 1
	s_addc_u32 s23, s23, 0
	s_waitcnt vmcnt(0)
	v_and_b32_e32 v2, 0xffff, v2
	v_lshlrev_b64 v[9:10], s20, v[2:3]
	s_add_u32 s20, s20, 8
	s_addc_u32 s21, s21, 0
	v_or_b32_e32 v23, v9, v23
	s_cmp_lg_u32 s24, s22
	v_or_b32_e32 v24, v10, v24
	s_cbranch_scc1 .LBB3_724
	s_branch .LBB3_727
.LBB3_725:                              ;   in Loop: Header=BB3_690 Depth=1
                                        ; implicit-def: $sgpr15
	s_branch .LBB3_728
.LBB3_726:                              ;   in Loop: Header=BB3_690 Depth=1
	v_mov_b32_e32 v23, 0
	v_mov_b32_e32 v24, 0
.LBB3_727:                              ;   in Loop: Header=BB3_690 Depth=1
	s_mov_b32 s15, 0
	s_cbranch_execnz .LBB3_729
.LBB3_728:                              ;   in Loop: Header=BB3_690 Depth=1
	global_load_dwordx2 v[23:24], v3, s[4:5]
	s_add_i32 s15, s24, -8
	s_add_u32 s4, s4, 8
	s_addc_u32 s5, s5, 0
.LBB3_729:                              ;   in Loop: Header=BB3_690 Depth=1
	s_cmp_gt_u32 s15, 7
	s_cbranch_scc1 .LBB3_733
; %bb.730:                              ;   in Loop: Header=BB3_690 Depth=1
	s_cmp_eq_u32 s15, 0
	s_cbranch_scc1 .LBB3_734
; %bb.731:                              ;   in Loop: Header=BB3_690 Depth=1
	v_mov_b32_e32 v25, 0
	s_mov_b64 s[20:21], 0
	v_mov_b32_e32 v26, 0
	s_mov_b64 s[22:23], 0
.LBB3_732:                              ;   Parent Loop BB3_690 Depth=1
                                        ; =>  This Inner Loop Header: Depth=2
	s_add_u32 s24, s4, s22
	s_addc_u32 s25, s5, s23
	global_load_ubyte v2, v3, s[24:25]
	s_add_u32 s22, s22, 1
	s_addc_u32 s23, s23, 0
	s_waitcnt vmcnt(0)
	v_and_b32_e32 v2, 0xffff, v2
	v_lshlrev_b64 v[9:10], s20, v[2:3]
	s_add_u32 s20, s20, 8
	s_addc_u32 s21, s21, 0
	v_or_b32_e32 v25, v9, v25
	s_cmp_lg_u32 s15, s22
	v_or_b32_e32 v26, v10, v26
	s_cbranch_scc1 .LBB3_732
	s_branch .LBB3_735
.LBB3_733:                              ;   in Loop: Header=BB3_690 Depth=1
                                        ; implicit-def: $vgpr25_vgpr26
                                        ; implicit-def: $sgpr24
	s_branch .LBB3_736
.LBB3_734:                              ;   in Loop: Header=BB3_690 Depth=1
	v_mov_b32_e32 v25, 0
	v_mov_b32_e32 v26, 0
.LBB3_735:                              ;   in Loop: Header=BB3_690 Depth=1
	s_mov_b32 s24, 0
	s_cbranch_execnz .LBB3_737
.LBB3_736:                              ;   in Loop: Header=BB3_690 Depth=1
	global_load_dwordx2 v[25:26], v3, s[4:5]
	s_add_i32 s24, s15, -8
	s_add_u32 s4, s4, 8
	s_addc_u32 s5, s5, 0
.LBB3_737:                              ;   in Loop: Header=BB3_690 Depth=1
	s_cmp_gt_u32 s24, 7
	s_cbranch_scc1 .LBB3_741
; %bb.738:                              ;   in Loop: Header=BB3_690 Depth=1
	s_cmp_eq_u32 s24, 0
	s_cbranch_scc1 .LBB3_742
; %bb.739:                              ;   in Loop: Header=BB3_690 Depth=1
	v_mov_b32_e32 v27, 0
	s_mov_b64 s[20:21], 0
	v_mov_b32_e32 v28, 0
	s_mov_b64 s[22:23], s[4:5]
.LBB3_740:                              ;   Parent Loop BB3_690 Depth=1
                                        ; =>  This Inner Loop Header: Depth=2
	global_load_ubyte v2, v3, s[22:23]
	s_add_i32 s24, s24, -1
	s_waitcnt vmcnt(0)
	v_and_b32_e32 v2, 0xffff, v2
	v_lshlrev_b64 v[9:10], s20, v[2:3]
	s_add_u32 s20, s20, 8
	s_addc_u32 s21, s21, 0
	s_add_u32 s22, s22, 1
	s_addc_u32 s23, s23, 0
	v_or_b32_e32 v27, v9, v27
	s_cmp_lg_u32 s24, 0
	v_or_b32_e32 v28, v10, v28
	s_cbranch_scc1 .LBB3_740
	s_branch .LBB3_743
.LBB3_741:                              ;   in Loop: Header=BB3_690 Depth=1
	s_branch .LBB3_744
.LBB3_742:                              ;   in Loop: Header=BB3_690 Depth=1
	v_mov_b32_e32 v27, 0
	v_mov_b32_e32 v28, 0
.LBB3_743:                              ;   in Loop: Header=BB3_690 Depth=1
	s_cbranch_execnz .LBB3_745
.LBB3_744:                              ;   in Loop: Header=BB3_690 Depth=1
	global_load_dwordx2 v[27:28], v3, s[4:5]
.LBB3_745:                              ;   in Loop: Header=BB3_690 Depth=1
	v_readfirstlane_b32 s4, v51
	s_waitcnt vmcnt(0)
	v_mov_b32_e32 v9, 0
	v_mov_b32_e32 v10, 0
	v_cmp_eq_u32_e64 s[4:5], s4, v51
	s_and_saveexec_b64 s[20:21], s[4:5]
	s_cbranch_execz .LBB3_751
; %bb.746:                              ;   in Loop: Header=BB3_690 Depth=1
	global_load_dwordx2 v[31:32], v3, s[44:45] offset:24 glc
	s_waitcnt vmcnt(0)
	buffer_wbinvl1_vol
	global_load_dwordx2 v[9:10], v3, s[44:45] offset:40
	global_load_dwordx2 v[13:14], v3, s[44:45]
	s_waitcnt vmcnt(1)
	v_and_b32_e32 v2, v9, v31
	v_and_b32_e32 v9, v10, v32
	v_mul_lo_u32 v9, v9, 24
	v_mul_hi_u32 v10, v2, 24
	v_mul_lo_u32 v2, v2, 24
	v_add_u32_e32 v10, v10, v9
	s_waitcnt vmcnt(0)
	v_add_co_u32_e32 v9, vcc, v13, v2
	v_addc_co_u32_e32 v10, vcc, v14, v10, vcc
	global_load_dwordx2 v[29:30], v[9:10], off glc
	s_waitcnt vmcnt(0)
	global_atomic_cmpswap_x2 v[9:10], v3, v[29:32], s[44:45] offset:24 glc
	s_waitcnt vmcnt(0)
	buffer_wbinvl1_vol
	v_cmp_ne_u64_e32 vcc, v[9:10], v[31:32]
	s_and_saveexec_b64 s[22:23], vcc
	s_cbranch_execz .LBB3_750
; %bb.747:                              ;   in Loop: Header=BB3_690 Depth=1
	s_mov_b64 s[24:25], 0
.LBB3_748:                              ;   Parent Loop BB3_690 Depth=1
                                        ; =>  This Inner Loop Header: Depth=2
	s_sleep 1
	global_load_dwordx2 v[13:14], v3, s[44:45] offset:40
	global_load_dwordx2 v[29:30], v3, s[44:45]
	v_mov_b32_e32 v32, v10
	v_mov_b32_e32 v31, v9
	s_waitcnt vmcnt(1)
	v_and_b32_e32 v2, v13, v31
	s_waitcnt vmcnt(0)
	v_mad_u64_u32 v[9:10], s[26:27], v2, 24, v[29:30]
	v_and_b32_e32 v13, v14, v32
	v_mov_b32_e32 v2, v10
	v_mad_u64_u32 v[13:14], s[26:27], v13, 24, v[2:3]
	v_mov_b32_e32 v10, v13
	global_load_dwordx2 v[29:30], v[9:10], off glc
	s_waitcnt vmcnt(0)
	global_atomic_cmpswap_x2 v[9:10], v3, v[29:32], s[44:45] offset:24 glc
	s_waitcnt vmcnt(0)
	buffer_wbinvl1_vol
	v_cmp_eq_u64_e32 vcc, v[9:10], v[31:32]
	s_or_b64 s[24:25], vcc, s[24:25]
	s_andn2_b64 exec, exec, s[24:25]
	s_cbranch_execnz .LBB3_748
; %bb.749:                              ;   in Loop: Header=BB3_690 Depth=1
	s_or_b64 exec, exec, s[24:25]
.LBB3_750:                              ;   in Loop: Header=BB3_690 Depth=1
	s_or_b64 exec, exec, s[22:23]
.LBB3_751:                              ;   in Loop: Header=BB3_690 Depth=1
	s_or_b64 exec, exec, s[20:21]
	global_load_dwordx2 v[13:14], v3, s[44:45] offset:40
	global_load_dwordx4 v[29:32], v3, s[44:45]
	v_readfirstlane_b32 s20, v9
	v_readfirstlane_b32 s21, v10
	s_mov_b64 s[22:23], exec
	s_waitcnt vmcnt(1)
	v_readfirstlane_b32 s24, v13
	v_readfirstlane_b32 s25, v14
	s_and_b64 s[24:25], s[20:21], s[24:25]
	s_mul_i32 s15, s25, 24
	s_mul_hi_u32 s26, s24, 24
	s_mul_i32 s27, s24, 24
	s_add_i32 s15, s26, s15
	v_mov_b32_e32 v2, s15
	s_waitcnt vmcnt(0)
	v_add_co_u32_e32 v33, vcc, s27, v29
	v_addc_co_u32_e32 v34, vcc, v30, v2, vcc
	s_and_saveexec_b64 s[26:27], s[4:5]
	s_cbranch_execz .LBB3_753
; %bb.752:                              ;   in Loop: Header=BB3_690 Depth=1
	v_mov_b32_e32 v9, s22
	v_mov_b32_e32 v10, s23
	global_store_dwordx4 v[33:34], v[9:12], off offset:8
.LBB3_753:                              ;   in Loop: Header=BB3_690 Depth=1
	s_or_b64 exec, exec, s[26:27]
	s_lshl_b64 s[22:23], s[24:25], 12
	v_mov_b32_e32 v2, s23
	v_add_co_u32_e32 v31, vcc, s22, v31
	v_addc_co_u32_e32 v32, vcc, v32, v2, vcc
	v_cmp_gt_u64_e64 vcc, s[16:17], 56
	v_or_b32_e32 v2, 0, v8
	v_or_b32_e32 v9, v7, v35
	s_lshl_b32 s15, s18, 2
	v_cndmask_b32_e32 v14, v2, v8, vcc
	v_cndmask_b32_e32 v2, v9, v7, vcc
	s_add_i32 s15, s15, 28
	s_and_b32 s15, s15, 0x1e0
	v_and_b32_e32 v2, 0xffffff1f, v2
	v_or_b32_e32 v13, s15, v2
	v_readfirstlane_b32 s22, v31
	v_readfirstlane_b32 s23, v32
	s_nop 4
	global_store_dwordx4 v50, v[13:16], s[22:23]
	global_store_dwordx4 v50, v[17:20], s[22:23] offset:16
	global_store_dwordx4 v50, v[21:24], s[22:23] offset:32
	;; [unrolled: 1-line block ×3, first 2 shown]
	s_and_saveexec_b64 s[22:23], s[4:5]
	s_cbranch_execz .LBB3_761
; %bb.754:                              ;   in Loop: Header=BB3_690 Depth=1
	global_load_dwordx2 v[17:18], v3, s[44:45] offset:32 glc
	global_load_dwordx2 v[7:8], v3, s[44:45] offset:40
	v_mov_b32_e32 v15, s20
	v_mov_b32_e32 v16, s21
	s_waitcnt vmcnt(0)
	v_readfirstlane_b32 s24, v7
	v_readfirstlane_b32 s25, v8
	s_and_b64 s[24:25], s[24:25], s[20:21]
	s_mul_i32 s15, s25, 24
	s_mul_hi_u32 s25, s24, 24
	s_mul_i32 s24, s24, 24
	s_add_i32 s15, s25, s15
	v_mov_b32_e32 v2, s15
	v_add_co_u32_e32 v13, vcc, s24, v29
	v_addc_co_u32_e32 v14, vcc, v30, v2, vcc
	global_store_dwordx2 v[13:14], v[17:18], off
	s_waitcnt vmcnt(0)
	global_atomic_cmpswap_x2 v[9:10], v3, v[15:18], s[44:45] offset:32 glc
	s_waitcnt vmcnt(0)
	v_cmp_ne_u64_e32 vcc, v[9:10], v[17:18]
	s_and_saveexec_b64 s[24:25], vcc
	s_cbranch_execz .LBB3_757
; %bb.755:                              ;   in Loop: Header=BB3_690 Depth=1
	s_mov_b64 s[26:27], 0
.LBB3_756:                              ;   Parent Loop BB3_690 Depth=1
                                        ; =>  This Inner Loop Header: Depth=2
	s_sleep 1
	global_store_dwordx2 v[13:14], v[9:10], off
	v_mov_b32_e32 v7, s20
	v_mov_b32_e32 v8, s21
	s_waitcnt vmcnt(0)
	global_atomic_cmpswap_x2 v[7:8], v3, v[7:10], s[44:45] offset:32 glc
	s_waitcnt vmcnt(0)
	v_cmp_eq_u64_e32 vcc, v[7:8], v[9:10]
	v_mov_b32_e32 v10, v8
	s_or_b64 s[26:27], vcc, s[26:27]
	v_mov_b32_e32 v9, v7
	s_andn2_b64 exec, exec, s[26:27]
	s_cbranch_execnz .LBB3_756
.LBB3_757:                              ;   in Loop: Header=BB3_690 Depth=1
	s_or_b64 exec, exec, s[24:25]
	global_load_dwordx2 v[7:8], v3, s[44:45] offset:16
	s_mov_b64 s[26:27], exec
	v_mbcnt_lo_u32_b32 v2, s26, 0
	v_mbcnt_hi_u32_b32 v2, s27, v2
	v_cmp_eq_u32_e32 vcc, 0, v2
	s_and_saveexec_b64 s[24:25], vcc
	s_cbranch_execz .LBB3_759
; %bb.758:                              ;   in Loop: Header=BB3_690 Depth=1
	s_bcnt1_i32_b64 s15, s[26:27]
	v_mov_b32_e32 v2, s15
	s_waitcnt vmcnt(0)
	global_atomic_add_x2 v[7:8], v[2:3], off offset:8
.LBB3_759:                              ;   in Loop: Header=BB3_690 Depth=1
	s_or_b64 exec, exec, s[24:25]
	s_waitcnt vmcnt(0)
	global_load_dwordx2 v[9:10], v[7:8], off offset:16
	s_waitcnt vmcnt(0)
	v_cmp_eq_u64_e32 vcc, 0, v[9:10]
	s_cbranch_vccnz .LBB3_761
; %bb.760:                              ;   in Loop: Header=BB3_690 Depth=1
	global_load_dword v2, v[7:8], off offset:24
	s_waitcnt vmcnt(0)
	global_store_dwordx2 v[9:10], v[2:3], off
	v_and_b32_e32 v2, 0xffffff, v2
	v_readfirstlane_b32 m0, v2
	s_sendmsg sendmsg(MSG_INTERRUPT)
.LBB3_761:                              ;   in Loop: Header=BB3_690 Depth=1
	s_or_b64 exec, exec, s[22:23]
	v_add_co_u32_e32 v7, vcc, v31, v50
	v_addc_co_u32_e32 v8, vcc, 0, v32, vcc
	s_branch .LBB3_765
.LBB3_762:                              ;   in Loop: Header=BB3_765 Depth=2
	s_or_b64 exec, exec, s[22:23]
	v_readfirstlane_b32 s15, v2
	s_cmp_eq_u32 s15, 0
	s_cbranch_scc1 .LBB3_764
; %bb.763:                              ;   in Loop: Header=BB3_765 Depth=2
	s_sleep 1
	s_cbranch_execnz .LBB3_765
	s_branch .LBB3_767
.LBB3_764:                              ;   in Loop: Header=BB3_690 Depth=1
	s_branch .LBB3_767
.LBB3_765:                              ;   Parent Loop BB3_690 Depth=1
                                        ; =>  This Inner Loop Header: Depth=2
	v_mov_b32_e32 v2, 1
	s_and_saveexec_b64 s[22:23], s[4:5]
	s_cbranch_execz .LBB3_762
; %bb.766:                              ;   in Loop: Header=BB3_765 Depth=2
	global_load_dword v2, v[33:34], off offset:20 glc
	s_waitcnt vmcnt(0)
	buffer_wbinvl1_vol
	v_and_b32_e32 v2, 1, v2
	s_branch .LBB3_762
.LBB3_767:                              ;   in Loop: Header=BB3_690 Depth=1
	global_load_dwordx4 v[7:10], v[7:8], off
	s_and_saveexec_b64 s[22:23], s[4:5]
	s_cbranch_execz .LBB3_689
; %bb.768:                              ;   in Loop: Header=BB3_690 Depth=1
	global_load_dwordx2 v[9:10], v3, s[44:45] offset:40
	global_load_dwordx2 v[17:18], v3, s[44:45] offset:24 glc
	global_load_dwordx2 v[19:20], v3, s[44:45]
	v_mov_b32_e32 v2, s21
	s_waitcnt vmcnt(2)
	v_add_co_u32_e32 v15, vcc, 1, v9
	v_addc_co_u32_e32 v16, vcc, 0, v10, vcc
	v_add_co_u32_e32 v13, vcc, s20, v15
	v_addc_co_u32_e32 v14, vcc, v16, v2, vcc
	v_cmp_eq_u64_e32 vcc, 0, v[13:14]
	v_cndmask_b32_e32 v14, v14, v16, vcc
	v_cndmask_b32_e32 v13, v13, v15, vcc
	v_and_b32_e32 v2, v14, v10
	v_and_b32_e32 v9, v13, v9
	v_mul_lo_u32 v2, v2, 24
	v_mul_hi_u32 v10, v9, 24
	v_mul_lo_u32 v9, v9, 24
	s_waitcnt vmcnt(1)
	v_mov_b32_e32 v15, v17
	v_mov_b32_e32 v16, v18
	v_add_u32_e32 v2, v10, v2
	s_waitcnt vmcnt(0)
	v_add_co_u32_e32 v9, vcc, v19, v9
	v_addc_co_u32_e32 v10, vcc, v20, v2, vcc
	global_store_dwordx2 v[9:10], v[17:18], off
	s_waitcnt vmcnt(0)
	global_atomic_cmpswap_x2 v[15:16], v3, v[13:16], s[44:45] offset:24 glc
	s_waitcnt vmcnt(0)
	v_cmp_ne_u64_e32 vcc, v[15:16], v[17:18]
	s_and_b64 exec, exec, vcc
	s_cbranch_execz .LBB3_689
; %bb.769:                              ;   in Loop: Header=BB3_690 Depth=1
	s_mov_b64 s[4:5], 0
.LBB3_770:                              ;   Parent Loop BB3_690 Depth=1
                                        ; =>  This Inner Loop Header: Depth=2
	s_sleep 1
	global_store_dwordx2 v[9:10], v[15:16], off
	s_waitcnt vmcnt(0)
	global_atomic_cmpswap_x2 v[17:18], v3, v[13:16], s[44:45] offset:24 glc
	s_waitcnt vmcnt(0)
	v_cmp_eq_u64_e32 vcc, v[17:18], v[15:16]
	v_mov_b32_e32 v15, v17
	s_or_b64 s[4:5], vcc, s[4:5]
	v_mov_b32_e32 v16, v18
	s_andn2_b64 exec, exec, s[4:5]
	s_cbranch_execnz .LBB3_770
	s_branch .LBB3_689
.LBB3_771:
	s_branch .LBB3_799
.LBB3_772:
                                        ; implicit-def: $vgpr7_vgpr8
	s_cbranch_execz .LBB3_799
; %bb.773:
	v_readfirstlane_b32 s4, v51
	v_mov_b32_e32 v11, 0
	v_mov_b32_e32 v12, 0
	v_cmp_eq_u32_e64 s[4:5], s4, v51
	s_and_saveexec_b64 s[10:11], s[4:5]
	s_cbranch_execz .LBB3_779
; %bb.774:
	v_mov_b32_e32 v2, 0
	global_load_dwordx2 v[9:10], v2, s[44:45] offset:24 glc
	s_waitcnt vmcnt(0)
	buffer_wbinvl1_vol
	global_load_dwordx2 v[7:8], v2, s[44:45] offset:40
	global_load_dwordx2 v[11:12], v2, s[44:45]
	s_waitcnt vmcnt(1)
	v_and_b32_e32 v3, v7, v9
	v_and_b32_e32 v7, v8, v10
	v_mul_lo_u32 v7, v7, 24
	v_mul_hi_u32 v8, v3, 24
	v_mul_lo_u32 v3, v3, 24
	v_add_u32_e32 v8, v8, v7
	s_waitcnt vmcnt(0)
	v_add_co_u32_e32 v7, vcc, v11, v3
	v_addc_co_u32_e32 v8, vcc, v12, v8, vcc
	global_load_dwordx2 v[7:8], v[7:8], off glc
	s_waitcnt vmcnt(0)
	global_atomic_cmpswap_x2 v[11:12], v2, v[7:10], s[44:45] offset:24 glc
	s_waitcnt vmcnt(0)
	buffer_wbinvl1_vol
	v_cmp_ne_u64_e32 vcc, v[11:12], v[9:10]
	s_and_saveexec_b64 s[16:17], vcc
	s_cbranch_execz .LBB3_778
; %bb.775:
	s_mov_b64 s[18:19], 0
.LBB3_776:                              ; =>This Inner Loop Header: Depth=1
	s_sleep 1
	global_load_dwordx2 v[7:8], v2, s[44:45] offset:40
	global_load_dwordx2 v[13:14], v2, s[44:45]
	v_mov_b32_e32 v9, v11
	v_mov_b32_e32 v10, v12
	s_waitcnt vmcnt(1)
	v_and_b32_e32 v3, v7, v9
	s_waitcnt vmcnt(0)
	v_mad_u64_u32 v[11:12], s[20:21], v3, 24, v[13:14]
	v_and_b32_e32 v7, v8, v10
	v_mov_b32_e32 v3, v12
	v_mad_u64_u32 v[7:8], s[20:21], v7, 24, v[3:4]
	v_mov_b32_e32 v12, v7
	global_load_dwordx2 v[7:8], v[11:12], off glc
	s_waitcnt vmcnt(0)
	global_atomic_cmpswap_x2 v[11:12], v2, v[7:10], s[44:45] offset:24 glc
	s_waitcnt vmcnt(0)
	buffer_wbinvl1_vol
	v_cmp_eq_u64_e32 vcc, v[11:12], v[9:10]
	s_or_b64 s[18:19], vcc, s[18:19]
	s_andn2_b64 exec, exec, s[18:19]
	s_cbranch_execnz .LBB3_776
; %bb.777:
	s_or_b64 exec, exec, s[18:19]
.LBB3_778:
	s_or_b64 exec, exec, s[16:17]
.LBB3_779:
	s_or_b64 exec, exec, s[10:11]
	v_mov_b32_e32 v2, 0
	global_load_dwordx2 v[13:14], v2, s[44:45] offset:40
	global_load_dwordx4 v[7:10], v2, s[44:45]
	v_readfirstlane_b32 s10, v11
	v_readfirstlane_b32 s11, v12
	s_mov_b64 s[16:17], exec
	s_waitcnt vmcnt(1)
	v_readfirstlane_b32 s18, v13
	v_readfirstlane_b32 s19, v14
	s_and_b64 s[18:19], s[10:11], s[18:19]
	s_mul_i32 s15, s19, 24
	s_mul_hi_u32 s20, s18, 24
	s_mul_i32 s21, s18, 24
	s_add_i32 s15, s20, s15
	v_mov_b32_e32 v3, s15
	s_waitcnt vmcnt(0)
	v_add_co_u32_e32 v11, vcc, s21, v7
	v_addc_co_u32_e32 v12, vcc, v8, v3, vcc
	s_and_saveexec_b64 s[20:21], s[4:5]
	s_cbranch_execz .LBB3_781
; %bb.780:
	v_mov_b32_e32 v13, s16
	v_mov_b32_e32 v14, s17
	;; [unrolled: 1-line block ×4, first 2 shown]
	global_store_dwordx4 v[11:12], v[13:16], off offset:8
.LBB3_781:
	s_or_b64 exec, exec, s[20:21]
	s_lshl_b64 s[16:17], s[18:19], 12
	v_mov_b32_e32 v3, s17
	v_add_co_u32_e32 v13, vcc, s16, v9
	v_addc_co_u32_e32 v14, vcc, v10, v3, vcc
	s_movk_i32 s15, 0xff1f
	v_and_or_b32 v0, v0, s15, 32
	s_mov_b32 s16, 0
	v_mov_b32_e32 v3, v2
	v_readfirstlane_b32 s20, v13
	v_readfirstlane_b32 s21, v14
	v_add_co_u32_e32 v9, vcc, v13, v50
	s_mov_b32 s17, s16
	s_mov_b32 s18, s16
	;; [unrolled: 1-line block ×3, first 2 shown]
	s_nop 0
	global_store_dwordx4 v50, v[0:3], s[20:21]
	v_addc_co_u32_e32 v10, vcc, 0, v14, vcc
	v_mov_b32_e32 v0, s16
	v_mov_b32_e32 v1, s17
	;; [unrolled: 1-line block ×4, first 2 shown]
	global_store_dwordx4 v50, v[0:3], s[20:21] offset:16
	global_store_dwordx4 v50, v[0:3], s[20:21] offset:32
	;; [unrolled: 1-line block ×3, first 2 shown]
	s_and_saveexec_b64 s[16:17], s[4:5]
	s_cbranch_execz .LBB3_789
; %bb.782:
	v_mov_b32_e32 v13, 0
	global_load_dwordx2 v[16:17], v13, s[44:45] offset:32 glc
	global_load_dwordx2 v[0:1], v13, s[44:45] offset:40
	v_mov_b32_e32 v14, s10
	v_mov_b32_e32 v15, s11
	s_waitcnt vmcnt(0)
	v_readfirstlane_b32 s18, v0
	v_readfirstlane_b32 s19, v1
	s_and_b64 s[18:19], s[18:19], s[10:11]
	s_mul_i32 s15, s19, 24
	s_mul_hi_u32 s19, s18, 24
	s_mul_i32 s18, s18, 24
	s_add_i32 s15, s19, s15
	v_mov_b32_e32 v0, s15
	v_add_co_u32_e32 v7, vcc, s18, v7
	v_addc_co_u32_e32 v8, vcc, v8, v0, vcc
	global_store_dwordx2 v[7:8], v[16:17], off
	s_waitcnt vmcnt(0)
	global_atomic_cmpswap_x2 v[2:3], v13, v[14:17], s[44:45] offset:32 glc
	s_waitcnt vmcnt(0)
	v_cmp_ne_u64_e32 vcc, v[2:3], v[16:17]
	s_and_saveexec_b64 s[18:19], vcc
	s_cbranch_execz .LBB3_785
; %bb.783:
	s_mov_b64 s[20:21], 0
.LBB3_784:                              ; =>This Inner Loop Header: Depth=1
	s_sleep 1
	global_store_dwordx2 v[7:8], v[2:3], off
	v_mov_b32_e32 v0, s10
	v_mov_b32_e32 v1, s11
	s_waitcnt vmcnt(0)
	global_atomic_cmpswap_x2 v[0:1], v13, v[0:3], s[44:45] offset:32 glc
	s_waitcnt vmcnt(0)
	v_cmp_eq_u64_e32 vcc, v[0:1], v[2:3]
	v_mov_b32_e32 v3, v1
	s_or_b64 s[20:21], vcc, s[20:21]
	v_mov_b32_e32 v2, v0
	s_andn2_b64 exec, exec, s[20:21]
	s_cbranch_execnz .LBB3_784
.LBB3_785:
	s_or_b64 exec, exec, s[18:19]
	v_mov_b32_e32 v3, 0
	global_load_dwordx2 v[0:1], v3, s[44:45] offset:16
	s_mov_b64 s[18:19], exec
	v_mbcnt_lo_u32_b32 v2, s18, 0
	v_mbcnt_hi_u32_b32 v2, s19, v2
	v_cmp_eq_u32_e32 vcc, 0, v2
	s_and_saveexec_b64 s[20:21], vcc
	s_cbranch_execz .LBB3_787
; %bb.786:
	s_bcnt1_i32_b64 s15, s[18:19]
	v_mov_b32_e32 v2, s15
	s_waitcnt vmcnt(0)
	global_atomic_add_x2 v[0:1], v[2:3], off offset:8
.LBB3_787:
	s_or_b64 exec, exec, s[20:21]
	s_waitcnt vmcnt(0)
	global_load_dwordx2 v[2:3], v[0:1], off offset:16
	s_waitcnt vmcnt(0)
	v_cmp_eq_u64_e32 vcc, 0, v[2:3]
	s_cbranch_vccnz .LBB3_789
; %bb.788:
	global_load_dword v0, v[0:1], off offset:24
	v_mov_b32_e32 v1, 0
	s_waitcnt vmcnt(0)
	global_store_dwordx2 v[2:3], v[0:1], off
	v_and_b32_e32 v0, 0xffffff, v0
	v_readfirstlane_b32 m0, v0
	s_sendmsg sendmsg(MSG_INTERRUPT)
.LBB3_789:
	s_or_b64 exec, exec, s[16:17]
	s_branch .LBB3_793
.LBB3_790:                              ;   in Loop: Header=BB3_793 Depth=1
	s_or_b64 exec, exec, s[16:17]
	v_readfirstlane_b32 s15, v0
	s_cmp_eq_u32 s15, 0
	s_cbranch_scc1 .LBB3_792
; %bb.791:                              ;   in Loop: Header=BB3_793 Depth=1
	s_sleep 1
	s_cbranch_execnz .LBB3_793
	s_branch .LBB3_795
.LBB3_792:
	s_branch .LBB3_795
.LBB3_793:                              ; =>This Inner Loop Header: Depth=1
	v_mov_b32_e32 v0, 1
	s_and_saveexec_b64 s[16:17], s[4:5]
	s_cbranch_execz .LBB3_790
; %bb.794:                              ;   in Loop: Header=BB3_793 Depth=1
	global_load_dword v0, v[11:12], off offset:20 glc
	s_waitcnt vmcnt(0)
	buffer_wbinvl1_vol
	v_and_b32_e32 v0, 1, v0
	s_branch .LBB3_790
.LBB3_795:
	global_load_dwordx2 v[7:8], v[9:10], off
	s_and_saveexec_b64 s[16:17], s[4:5]
	s_cbranch_execz .LBB3_798
; %bb.796:
	v_mov_b32_e32 v11, 0
	global_load_dwordx2 v[2:3], v11, s[44:45] offset:40
	global_load_dwordx2 v[12:13], v11, s[44:45] offset:24 glc
	global_load_dwordx2 v[9:10], v11, s[44:45]
	v_mov_b32_e32 v1, s11
	s_mov_b64 s[4:5], 0
	s_waitcnt vmcnt(2)
	v_add_co_u32_e32 v14, vcc, 1, v2
	v_addc_co_u32_e32 v15, vcc, 0, v3, vcc
	v_add_co_u32_e32 v0, vcc, s10, v14
	v_addc_co_u32_e32 v1, vcc, v15, v1, vcc
	v_cmp_eq_u64_e32 vcc, 0, v[0:1]
	v_cndmask_b32_e32 v1, v1, v15, vcc
	v_cndmask_b32_e32 v0, v0, v14, vcc
	v_and_b32_e32 v3, v1, v3
	v_and_b32_e32 v2, v0, v2
	v_mul_lo_u32 v3, v3, 24
	v_mul_hi_u32 v14, v2, 24
	v_mul_lo_u32 v15, v2, 24
	s_waitcnt vmcnt(1)
	v_mov_b32_e32 v2, v12
	v_add_u32_e32 v3, v14, v3
	s_waitcnt vmcnt(0)
	v_add_co_u32_e32 v9, vcc, v9, v15
	v_addc_co_u32_e32 v10, vcc, v10, v3, vcc
	global_store_dwordx2 v[9:10], v[12:13], off
	v_mov_b32_e32 v3, v13
	s_waitcnt vmcnt(0)
	global_atomic_cmpswap_x2 v[2:3], v11, v[0:3], s[44:45] offset:24 glc
	s_waitcnt vmcnt(0)
	v_cmp_ne_u64_e32 vcc, v[2:3], v[12:13]
	s_and_b64 exec, exec, vcc
	s_cbranch_execz .LBB3_798
.LBB3_797:                              ; =>This Inner Loop Header: Depth=1
	s_sleep 1
	global_store_dwordx2 v[9:10], v[2:3], off
	s_waitcnt vmcnt(0)
	global_atomic_cmpswap_x2 v[12:13], v11, v[0:3], s[44:45] offset:24 glc
	s_waitcnt vmcnt(0)
	v_cmp_eq_u64_e32 vcc, v[12:13], v[2:3]
	v_mov_b32_e32 v2, v12
	s_or_b64 s[4:5], vcc, s[4:5]
	v_mov_b32_e32 v3, v13
	s_andn2_b64 exec, exec, s[4:5]
	s_cbranch_execnz .LBB3_797
.LBB3_798:
	s_or_b64 exec, exec, s[16:17]
.LBB3_799:
	v_readfirstlane_b32 s4, v51
	v_mov_b32_e32 v11, 0
	v_mov_b32_e32 v12, 0
	v_cmp_eq_u32_e64 s[4:5], s4, v51
	s_and_saveexec_b64 s[10:11], s[4:5]
	s_cbranch_execz .LBB3_805
; %bb.800:
	s_waitcnt vmcnt(0)
	v_mov_b32_e32 v0, 0
	global_load_dwordx2 v[13:14], v0, s[44:45] offset:24 glc
	s_waitcnt vmcnt(0)
	buffer_wbinvl1_vol
	global_load_dwordx2 v[1:2], v0, s[44:45] offset:40
	global_load_dwordx2 v[9:10], v0, s[44:45]
	s_waitcnt vmcnt(1)
	v_and_b32_e32 v1, v1, v13
	v_and_b32_e32 v2, v2, v14
	v_mul_lo_u32 v2, v2, 24
	v_mul_hi_u32 v3, v1, 24
	v_mul_lo_u32 v1, v1, 24
	v_add_u32_e32 v2, v3, v2
	s_waitcnt vmcnt(0)
	v_add_co_u32_e32 v1, vcc, v9, v1
	v_addc_co_u32_e32 v2, vcc, v10, v2, vcc
	global_load_dwordx2 v[11:12], v[1:2], off glc
	s_waitcnt vmcnt(0)
	global_atomic_cmpswap_x2 v[11:12], v0, v[11:14], s[44:45] offset:24 glc
	s_waitcnt vmcnt(0)
	buffer_wbinvl1_vol
	v_cmp_ne_u64_e32 vcc, v[11:12], v[13:14]
	s_and_saveexec_b64 s[16:17], vcc
	s_cbranch_execz .LBB3_804
; %bb.801:
	s_mov_b64 s[18:19], 0
.LBB3_802:                              ; =>This Inner Loop Header: Depth=1
	s_sleep 1
	global_load_dwordx2 v[1:2], v0, s[44:45] offset:40
	global_load_dwordx2 v[9:10], v0, s[44:45]
	v_mov_b32_e32 v14, v12
	v_mov_b32_e32 v13, v11
	s_waitcnt vmcnt(1)
	v_and_b32_e32 v1, v1, v13
	s_waitcnt vmcnt(0)
	v_mad_u64_u32 v[9:10], s[20:21], v1, 24, v[9:10]
	v_and_b32_e32 v2, v2, v14
	v_mov_b32_e32 v1, v10
	v_mad_u64_u32 v[1:2], s[20:21], v2, 24, v[1:2]
	v_mov_b32_e32 v10, v1
	global_load_dwordx2 v[11:12], v[9:10], off glc
	s_waitcnt vmcnt(0)
	global_atomic_cmpswap_x2 v[11:12], v0, v[11:14], s[44:45] offset:24 glc
	s_waitcnt vmcnt(0)
	buffer_wbinvl1_vol
	v_cmp_eq_u64_e32 vcc, v[11:12], v[13:14]
	s_or_b64 s[18:19], vcc, s[18:19]
	s_andn2_b64 exec, exec, s[18:19]
	s_cbranch_execnz .LBB3_802
; %bb.803:
	s_or_b64 exec, exec, s[18:19]
.LBB3_804:
	s_or_b64 exec, exec, s[16:17]
.LBB3_805:
	s_or_b64 exec, exec, s[10:11]
	s_waitcnt vmcnt(0)
	v_mov_b32_e32 v10, 0
	global_load_dwordx2 v[13:14], v10, s[44:45] offset:40
	global_load_dwordx4 v[0:3], v10, s[44:45]
	v_readfirstlane_b32 s10, v11
	v_readfirstlane_b32 s11, v12
	s_mov_b64 s[16:17], exec
	s_waitcnt vmcnt(1)
	v_readfirstlane_b32 s18, v13
	v_readfirstlane_b32 s19, v14
	s_and_b64 s[18:19], s[10:11], s[18:19]
	s_mul_i32 s15, s19, 24
	s_mul_hi_u32 s20, s18, 24
	s_mul_i32 s21, s18, 24
	s_add_i32 s15, s20, s15
	v_mov_b32_e32 v9, s15
	s_waitcnt vmcnt(0)
	v_add_co_u32_e32 v11, vcc, s21, v0
	v_addc_co_u32_e32 v12, vcc, v1, v9, vcc
	s_and_saveexec_b64 s[20:21], s[4:5]
	s_cbranch_execz .LBB3_807
; %bb.806:
	v_mov_b32_e32 v13, s16
	v_mov_b32_e32 v14, s17
	;; [unrolled: 1-line block ×4, first 2 shown]
	global_store_dwordx4 v[11:12], v[13:16], off offset:8
.LBB3_807:
	s_or_b64 exec, exec, s[20:21]
	s_lshl_b64 s[16:17], s[18:19], 12
	v_mov_b32_e32 v9, s17
	v_add_co_u32_e32 v2, vcc, s16, v2
	v_addc_co_u32_e32 v3, vcc, v3, v9, vcc
	s_movk_i32 s15, 0xff1d
	v_and_or_b32 v7, v7, s15, 34
	s_mov_b32 s16, 0
	v_mov_b32_e32 v9, 58
	v_readfirstlane_b32 s20, v2
	v_readfirstlane_b32 s21, v3
	s_mov_b32 s17, s16
	s_mov_b32 s18, s16
	;; [unrolled: 1-line block ×3, first 2 shown]
	s_nop 1
	global_store_dwordx4 v50, v[7:10], s[20:21]
	s_nop 0
	v_mov_b32_e32 v7, s16
	v_mov_b32_e32 v8, s17
	;; [unrolled: 1-line block ×4, first 2 shown]
	global_store_dwordx4 v50, v[7:10], s[20:21] offset:16
	global_store_dwordx4 v50, v[7:10], s[20:21] offset:32
	global_store_dwordx4 v50, v[7:10], s[20:21] offset:48
	s_and_saveexec_b64 s[16:17], s[4:5]
	s_cbranch_execz .LBB3_815
; %bb.808:
	v_mov_b32_e32 v9, 0
	global_load_dwordx2 v[15:16], v9, s[44:45] offset:32 glc
	global_load_dwordx2 v[2:3], v9, s[44:45] offset:40
	v_mov_b32_e32 v13, s10
	v_mov_b32_e32 v14, s11
	s_waitcnt vmcnt(0)
	v_readfirstlane_b32 s18, v2
	v_readfirstlane_b32 s19, v3
	s_and_b64 s[18:19], s[18:19], s[10:11]
	s_mul_i32 s15, s19, 24
	s_mul_hi_u32 s19, s18, 24
	s_mul_i32 s18, s18, 24
	s_add_i32 s15, s19, s15
	v_mov_b32_e32 v2, s15
	v_add_co_u32_e32 v7, vcc, s18, v0
	v_addc_co_u32_e32 v8, vcc, v1, v2, vcc
	global_store_dwordx2 v[7:8], v[15:16], off
	s_waitcnt vmcnt(0)
	global_atomic_cmpswap_x2 v[2:3], v9, v[13:16], s[44:45] offset:32 glc
	s_waitcnt vmcnt(0)
	v_cmp_ne_u64_e32 vcc, v[2:3], v[15:16]
	s_and_saveexec_b64 s[18:19], vcc
	s_cbranch_execz .LBB3_811
; %bb.809:
	s_mov_b64 s[20:21], 0
.LBB3_810:                              ; =>This Inner Loop Header: Depth=1
	s_sleep 1
	global_store_dwordx2 v[7:8], v[2:3], off
	v_mov_b32_e32 v0, s10
	v_mov_b32_e32 v1, s11
	s_waitcnt vmcnt(0)
	global_atomic_cmpswap_x2 v[0:1], v9, v[0:3], s[44:45] offset:32 glc
	s_waitcnt vmcnt(0)
	v_cmp_eq_u64_e32 vcc, v[0:1], v[2:3]
	v_mov_b32_e32 v3, v1
	s_or_b64 s[20:21], vcc, s[20:21]
	v_mov_b32_e32 v2, v0
	s_andn2_b64 exec, exec, s[20:21]
	s_cbranch_execnz .LBB3_810
.LBB3_811:
	s_or_b64 exec, exec, s[18:19]
	v_mov_b32_e32 v3, 0
	global_load_dwordx2 v[0:1], v3, s[44:45] offset:16
	s_mov_b64 s[18:19], exec
	v_mbcnt_lo_u32_b32 v2, s18, 0
	v_mbcnt_hi_u32_b32 v2, s19, v2
	v_cmp_eq_u32_e32 vcc, 0, v2
	s_and_saveexec_b64 s[20:21], vcc
	s_cbranch_execz .LBB3_813
; %bb.812:
	s_bcnt1_i32_b64 s15, s[18:19]
	v_mov_b32_e32 v2, s15
	s_waitcnt vmcnt(0)
	global_atomic_add_x2 v[0:1], v[2:3], off offset:8
.LBB3_813:
	s_or_b64 exec, exec, s[20:21]
	s_waitcnt vmcnt(0)
	global_load_dwordx2 v[2:3], v[0:1], off offset:16
	s_waitcnt vmcnt(0)
	v_cmp_eq_u64_e32 vcc, 0, v[2:3]
	s_cbranch_vccnz .LBB3_815
; %bb.814:
	global_load_dword v0, v[0:1], off offset:24
	v_mov_b32_e32 v1, 0
	s_waitcnt vmcnt(0)
	global_store_dwordx2 v[2:3], v[0:1], off
	v_and_b32_e32 v0, 0xffffff, v0
	v_readfirstlane_b32 m0, v0
	s_sendmsg sendmsg(MSG_INTERRUPT)
.LBB3_815:
	s_or_b64 exec, exec, s[16:17]
	s_branch .LBB3_819
.LBB3_816:                              ;   in Loop: Header=BB3_819 Depth=1
	s_or_b64 exec, exec, s[16:17]
	v_readfirstlane_b32 s15, v0
	s_cmp_eq_u32 s15, 0
	s_cbranch_scc1 .LBB3_818
; %bb.817:                              ;   in Loop: Header=BB3_819 Depth=1
	s_sleep 1
	s_cbranch_execnz .LBB3_819
	s_branch .LBB3_821
.LBB3_818:
	s_branch .LBB3_821
.LBB3_819:                              ; =>This Inner Loop Header: Depth=1
	v_mov_b32_e32 v0, 1
	s_and_saveexec_b64 s[16:17], s[4:5]
	s_cbranch_execz .LBB3_816
; %bb.820:                              ;   in Loop: Header=BB3_819 Depth=1
	global_load_dword v0, v[11:12], off offset:20 glc
	s_waitcnt vmcnt(0)
	buffer_wbinvl1_vol
	v_and_b32_e32 v0, 1, v0
	s_branch .LBB3_816
.LBB3_821:
	s_and_saveexec_b64 s[16:17], s[4:5]
	s_cbranch_execz .LBB3_824
; %bb.822:
	v_mov_b32_e32 v9, 0
	global_load_dwordx2 v[2:3], v9, s[44:45] offset:40
	global_load_dwordx2 v[10:11], v9, s[44:45] offset:24 glc
	global_load_dwordx2 v[7:8], v9, s[44:45]
	v_mov_b32_e32 v1, s11
	s_mov_b64 s[4:5], 0
	s_waitcnt vmcnt(2)
	v_add_co_u32_e32 v12, vcc, 1, v2
	v_addc_co_u32_e32 v13, vcc, 0, v3, vcc
	v_add_co_u32_e32 v0, vcc, s10, v12
	v_addc_co_u32_e32 v1, vcc, v13, v1, vcc
	v_cmp_eq_u64_e32 vcc, 0, v[0:1]
	v_cndmask_b32_e32 v1, v1, v13, vcc
	v_cndmask_b32_e32 v0, v0, v12, vcc
	v_and_b32_e32 v3, v1, v3
	v_and_b32_e32 v2, v0, v2
	v_mul_lo_u32 v3, v3, 24
	v_mul_hi_u32 v12, v2, 24
	v_mul_lo_u32 v13, v2, 24
	s_waitcnt vmcnt(1)
	v_mov_b32_e32 v2, v10
	v_add_u32_e32 v3, v12, v3
	s_waitcnt vmcnt(0)
	v_add_co_u32_e32 v7, vcc, v7, v13
	v_addc_co_u32_e32 v8, vcc, v8, v3, vcc
	global_store_dwordx2 v[7:8], v[10:11], off
	v_mov_b32_e32 v3, v11
	s_waitcnt vmcnt(0)
	global_atomic_cmpswap_x2 v[2:3], v9, v[0:3], s[44:45] offset:24 glc
	s_waitcnt vmcnt(0)
	v_cmp_ne_u64_e32 vcc, v[2:3], v[10:11]
	s_and_b64 exec, exec, vcc
	s_cbranch_execz .LBB3_824
.LBB3_823:                              ; =>This Inner Loop Header: Depth=1
	s_sleep 1
	global_store_dwordx2 v[7:8], v[2:3], off
	s_waitcnt vmcnt(0)
	global_atomic_cmpswap_x2 v[10:11], v9, v[0:3], s[44:45] offset:24 glc
	s_waitcnt vmcnt(0)
	v_cmp_eq_u64_e32 vcc, v[10:11], v[2:3]
	v_mov_b32_e32 v2, v10
	s_or_b64 s[4:5], vcc, s[4:5]
	v_mov_b32_e32 v3, v11
	s_andn2_b64 exec, exec, s[4:5]
	s_cbranch_execnz .LBB3_823
.LBB3_824:
	s_or_b64 exec, exec, s[16:17]
	v_readfirstlane_b32 s4, v51
	v_mov_b32_e32 v9, 0
	v_mov_b32_e32 v10, 0
	v_cmp_eq_u32_e64 s[4:5], s4, v51
	s_and_saveexec_b64 s[10:11], s[4:5]
	s_cbranch_execz .LBB3_830
; %bb.825:
	v_mov_b32_e32 v0, 0
	global_load_dwordx2 v[11:12], v0, s[44:45] offset:24 glc
	s_waitcnt vmcnt(0)
	buffer_wbinvl1_vol
	global_load_dwordx2 v[1:2], v0, s[44:45] offset:40
	global_load_dwordx2 v[7:8], v0, s[44:45]
	s_waitcnt vmcnt(1)
	v_and_b32_e32 v1, v1, v11
	v_and_b32_e32 v2, v2, v12
	v_mul_lo_u32 v2, v2, 24
	v_mul_hi_u32 v3, v1, 24
	v_mul_lo_u32 v1, v1, 24
	v_add_u32_e32 v2, v3, v2
	s_waitcnt vmcnt(0)
	v_add_co_u32_e32 v1, vcc, v7, v1
	v_addc_co_u32_e32 v2, vcc, v8, v2, vcc
	global_load_dwordx2 v[9:10], v[1:2], off glc
	s_waitcnt vmcnt(0)
	global_atomic_cmpswap_x2 v[9:10], v0, v[9:12], s[44:45] offset:24 glc
	s_waitcnt vmcnt(0)
	buffer_wbinvl1_vol
	v_cmp_ne_u64_e32 vcc, v[9:10], v[11:12]
	s_and_saveexec_b64 s[16:17], vcc
	s_cbranch_execz .LBB3_829
; %bb.826:
	s_mov_b64 s[18:19], 0
.LBB3_827:                              ; =>This Inner Loop Header: Depth=1
	s_sleep 1
	global_load_dwordx2 v[1:2], v0, s[44:45] offset:40
	global_load_dwordx2 v[7:8], v0, s[44:45]
	v_mov_b32_e32 v12, v10
	v_mov_b32_e32 v11, v9
	s_waitcnt vmcnt(1)
	v_and_b32_e32 v1, v1, v11
	s_waitcnt vmcnt(0)
	v_mad_u64_u32 v[7:8], s[20:21], v1, 24, v[7:8]
	v_and_b32_e32 v2, v2, v12
	v_mov_b32_e32 v1, v8
	v_mad_u64_u32 v[1:2], s[20:21], v2, 24, v[1:2]
	v_mov_b32_e32 v8, v1
	global_load_dwordx2 v[9:10], v[7:8], off glc
	s_waitcnt vmcnt(0)
	global_atomic_cmpswap_x2 v[9:10], v0, v[9:12], s[44:45] offset:24 glc
	s_waitcnt vmcnt(0)
	buffer_wbinvl1_vol
	v_cmp_eq_u64_e32 vcc, v[9:10], v[11:12]
	s_or_b64 s[18:19], vcc, s[18:19]
	s_andn2_b64 exec, exec, s[18:19]
	s_cbranch_execnz .LBB3_827
; %bb.828:
	s_or_b64 exec, exec, s[18:19]
.LBB3_829:
	s_or_b64 exec, exec, s[16:17]
.LBB3_830:
	s_or_b64 exec, exec, s[10:11]
	v_mov_b32_e32 v8, 0
	global_load_dwordx2 v[11:12], v8, s[44:45] offset:40
	global_load_dwordx4 v[0:3], v8, s[44:45]
	v_readfirstlane_b32 s10, v9
	v_readfirstlane_b32 s11, v10
	s_mov_b64 s[16:17], exec
	s_waitcnt vmcnt(1)
	v_readfirstlane_b32 s18, v11
	v_readfirstlane_b32 s19, v12
	s_and_b64 s[18:19], s[10:11], s[18:19]
	s_mul_i32 s15, s19, 24
	s_mul_hi_u32 s20, s18, 24
	s_mul_i32 s21, s18, 24
	s_add_i32 s15, s20, s15
	v_mov_b32_e32 v7, s15
	s_waitcnt vmcnt(0)
	v_add_co_u32_e32 v11, vcc, s21, v0
	v_addc_co_u32_e32 v12, vcc, v1, v7, vcc
	s_and_saveexec_b64 s[20:21], s[4:5]
	s_cbranch_execz .LBB3_832
; %bb.831:
	v_mov_b32_e32 v13, s16
	v_mov_b32_e32 v14, s17
	;; [unrolled: 1-line block ×4, first 2 shown]
	global_store_dwordx4 v[11:12], v[13:16], off offset:8
.LBB3_832:
	s_or_b64 exec, exec, s[20:21]
	s_lshl_b64 s[16:17], s[18:19], 12
	v_mov_b32_e32 v7, s17
	v_add_co_u32_e32 v2, vcc, s16, v2
	v_addc_co_u32_e32 v3, vcc, v3, v7, vcc
	s_mov_b32 s16, 0
	v_mov_b32_e32 v7, 33
	v_mov_b32_e32 v9, v8
	;; [unrolled: 1-line block ×3, first 2 shown]
	v_readfirstlane_b32 s20, v2
	v_readfirstlane_b32 s21, v3
	v_add_co_u32_e32 v13, vcc, v2, v50
	s_mov_b32 s17, s16
	s_mov_b32 s18, s16
	;; [unrolled: 1-line block ×3, first 2 shown]
	s_nop 0
	global_store_dwordx4 v50, v[7:10], s[20:21]
	v_addc_co_u32_e32 v14, vcc, 0, v3, vcc
	v_mov_b32_e32 v7, s16
	v_mov_b32_e32 v8, s17
	;; [unrolled: 1-line block ×4, first 2 shown]
	global_store_dwordx4 v50, v[7:10], s[20:21] offset:16
	global_store_dwordx4 v50, v[7:10], s[20:21] offset:32
	global_store_dwordx4 v50, v[7:10], s[20:21] offset:48
	s_and_saveexec_b64 s[16:17], s[4:5]
	s_cbranch_execz .LBB3_840
; %bb.833:
	v_mov_b32_e32 v9, 0
	global_load_dwordx2 v[17:18], v9, s[44:45] offset:32 glc
	global_load_dwordx2 v[2:3], v9, s[44:45] offset:40
	v_mov_b32_e32 v15, s10
	v_mov_b32_e32 v16, s11
	s_waitcnt vmcnt(0)
	v_readfirstlane_b32 s18, v2
	v_readfirstlane_b32 s19, v3
	s_and_b64 s[18:19], s[18:19], s[10:11]
	s_mul_i32 s15, s19, 24
	s_mul_hi_u32 s19, s18, 24
	s_mul_i32 s18, s18, 24
	s_add_i32 s15, s19, s15
	v_mov_b32_e32 v2, s15
	v_add_co_u32_e32 v7, vcc, s18, v0
	v_addc_co_u32_e32 v8, vcc, v1, v2, vcc
	global_store_dwordx2 v[7:8], v[17:18], off
	s_waitcnt vmcnt(0)
	global_atomic_cmpswap_x2 v[2:3], v9, v[15:18], s[44:45] offset:32 glc
	s_waitcnt vmcnt(0)
	v_cmp_ne_u64_e32 vcc, v[2:3], v[17:18]
	s_and_saveexec_b64 s[18:19], vcc
	s_cbranch_execz .LBB3_836
; %bb.834:
	s_mov_b64 s[20:21], 0
.LBB3_835:                              ; =>This Inner Loop Header: Depth=1
	s_sleep 1
	global_store_dwordx2 v[7:8], v[2:3], off
	v_mov_b32_e32 v0, s10
	v_mov_b32_e32 v1, s11
	s_waitcnt vmcnt(0)
	global_atomic_cmpswap_x2 v[0:1], v9, v[0:3], s[44:45] offset:32 glc
	s_waitcnt vmcnt(0)
	v_cmp_eq_u64_e32 vcc, v[0:1], v[2:3]
	v_mov_b32_e32 v3, v1
	s_or_b64 s[20:21], vcc, s[20:21]
	v_mov_b32_e32 v2, v0
	s_andn2_b64 exec, exec, s[20:21]
	s_cbranch_execnz .LBB3_835
.LBB3_836:
	s_or_b64 exec, exec, s[18:19]
	v_mov_b32_e32 v3, 0
	global_load_dwordx2 v[0:1], v3, s[44:45] offset:16
	s_mov_b64 s[18:19], exec
	v_mbcnt_lo_u32_b32 v2, s18, 0
	v_mbcnt_hi_u32_b32 v2, s19, v2
	v_cmp_eq_u32_e32 vcc, 0, v2
	s_and_saveexec_b64 s[20:21], vcc
	s_cbranch_execz .LBB3_838
; %bb.837:
	s_bcnt1_i32_b64 s15, s[18:19]
	v_mov_b32_e32 v2, s15
	s_waitcnt vmcnt(0)
	global_atomic_add_x2 v[0:1], v[2:3], off offset:8
.LBB3_838:
	s_or_b64 exec, exec, s[20:21]
	s_waitcnt vmcnt(0)
	global_load_dwordx2 v[2:3], v[0:1], off offset:16
	s_waitcnt vmcnt(0)
	v_cmp_eq_u64_e32 vcc, 0, v[2:3]
	s_cbranch_vccnz .LBB3_840
; %bb.839:
	global_load_dword v0, v[0:1], off offset:24
	v_mov_b32_e32 v1, 0
	s_waitcnt vmcnt(0)
	global_store_dwordx2 v[2:3], v[0:1], off
	v_and_b32_e32 v0, 0xffffff, v0
	v_readfirstlane_b32 m0, v0
	s_sendmsg sendmsg(MSG_INTERRUPT)
.LBB3_840:
	s_or_b64 exec, exec, s[16:17]
	s_branch .LBB3_844
.LBB3_841:                              ;   in Loop: Header=BB3_844 Depth=1
	s_or_b64 exec, exec, s[16:17]
	v_readfirstlane_b32 s15, v0
	s_cmp_eq_u32 s15, 0
	s_cbranch_scc1 .LBB3_843
; %bb.842:                              ;   in Loop: Header=BB3_844 Depth=1
	s_sleep 1
	s_cbranch_execnz .LBB3_844
	s_branch .LBB3_846
.LBB3_843:
	s_branch .LBB3_846
.LBB3_844:                              ; =>This Inner Loop Header: Depth=1
	v_mov_b32_e32 v0, 1
	s_and_saveexec_b64 s[16:17], s[4:5]
	s_cbranch_execz .LBB3_841
; %bb.845:                              ;   in Loop: Header=BB3_844 Depth=1
	global_load_dword v0, v[11:12], off offset:20 glc
	s_waitcnt vmcnt(0)
	buffer_wbinvl1_vol
	v_and_b32_e32 v0, 1, v0
	s_branch .LBB3_841
.LBB3_846:
	global_load_dwordx2 v[0:1], v[13:14], off
	s_and_saveexec_b64 s[16:17], s[4:5]
	s_cbranch_execz .LBB3_849
; %bb.847:
	v_mov_b32_e32 v11, 0
	global_load_dwordx2 v[2:3], v11, s[44:45] offset:40
	global_load_dwordx2 v[12:13], v11, s[44:45] offset:24 glc
	global_load_dwordx2 v[14:15], v11, s[44:45]
	v_mov_b32_e32 v8, s11
	s_mov_b64 s[4:5], 0
	s_waitcnt vmcnt(2)
	v_add_co_u32_e32 v9, vcc, 1, v2
	v_addc_co_u32_e32 v10, vcc, 0, v3, vcc
	v_add_co_u32_e32 v7, vcc, s10, v9
	v_addc_co_u32_e32 v8, vcc, v10, v8, vcc
	v_cmp_eq_u64_e32 vcc, 0, v[7:8]
	v_cndmask_b32_e32 v8, v8, v10, vcc
	v_cndmask_b32_e32 v7, v7, v9, vcc
	v_and_b32_e32 v3, v8, v3
	v_and_b32_e32 v2, v7, v2
	v_mul_lo_u32 v3, v3, 24
	v_mul_hi_u32 v10, v2, 24
	v_mul_lo_u32 v2, v2, 24
	s_waitcnt vmcnt(1)
	v_mov_b32_e32 v9, v12
	v_add_u32_e32 v3, v10, v3
	s_waitcnt vmcnt(0)
	v_add_co_u32_e32 v2, vcc, v14, v2
	v_addc_co_u32_e32 v3, vcc, v15, v3, vcc
	global_store_dwordx2 v[2:3], v[12:13], off
	v_mov_b32_e32 v10, v13
	s_waitcnt vmcnt(0)
	global_atomic_cmpswap_x2 v[9:10], v11, v[7:10], s[44:45] offset:24 glc
	s_waitcnt vmcnt(0)
	v_cmp_ne_u64_e32 vcc, v[9:10], v[12:13]
	s_and_b64 exec, exec, vcc
	s_cbranch_execz .LBB3_849
.LBB3_848:                              ; =>This Inner Loop Header: Depth=1
	s_sleep 1
	global_store_dwordx2 v[2:3], v[9:10], off
	s_waitcnt vmcnt(0)
	global_atomic_cmpswap_x2 v[12:13], v11, v[7:10], s[44:45] offset:24 glc
	s_waitcnt vmcnt(0)
	v_cmp_eq_u64_e32 vcc, v[12:13], v[9:10]
	v_mov_b32_e32 v9, v12
	s_or_b64 s[4:5], vcc, s[4:5]
	v_mov_b32_e32 v10, v13
	s_andn2_b64 exec, exec, s[4:5]
	s_cbranch_execnz .LBB3_848
.LBB3_849:
	s_or_b64 exec, exec, s[16:17]
	s_getpc_b64 s[10:11]
	s_add_u32 s10, s10, .str.7@rel32@lo+4
	s_addc_u32 s11, s11, .str.7@rel32@hi+12
	s_cmp_lg_u64 s[10:11], 0
	s_cbranch_scc0 .LBB3_934
; %bb.850:
	s_waitcnt vmcnt(0)
	v_and_b32_e32 v35, 2, v0
	v_mov_b32_e32 v3, 0
	v_and_b32_e32 v7, -3, v0
	v_mov_b32_e32 v8, v1
	s_mov_b64 s[16:17], 4
	v_mov_b32_e32 v11, 2
	v_mov_b32_e32 v12, 1
	s_branch .LBB3_852
.LBB3_851:                              ;   in Loop: Header=BB3_852 Depth=1
	s_or_b64 exec, exec, s[22:23]
	s_sub_u32 s16, s16, s18
	s_subb_u32 s17, s17, s19
	s_add_u32 s10, s10, s18
	s_addc_u32 s11, s11, s19
	s_cmp_lg_u64 s[16:17], 0
	s_cbranch_scc0 .LBB3_933
.LBB3_852:                              ; =>This Loop Header: Depth=1
                                        ;     Child Loop BB3_855 Depth 2
                                        ;     Child Loop BB3_862 Depth 2
	;; [unrolled: 1-line block ×11, first 2 shown]
	v_cmp_lt_u64_e64 s[4:5], s[16:17], 56
	v_cmp_gt_u64_e64 s[20:21], s[16:17], 7
	s_and_b64 s[4:5], s[4:5], exec
	s_cselect_b32 s19, s17, 0
	s_cselect_b32 s18, s16, 56
	s_and_b64 vcc, exec, s[20:21]
	s_cbranch_vccnz .LBB3_857
; %bb.853:                              ;   in Loop: Header=BB3_852 Depth=1
	v_mov_b32_e32 v15, 0
	s_cmp_eq_u64 s[16:17], 0
	v_mov_b32_e32 v16, 0
	s_mov_b64 s[4:5], 0
	s_cbranch_scc1 .LBB3_856
; %bb.854:                              ;   in Loop: Header=BB3_852 Depth=1
	v_mov_b32_e32 v15, 0
	s_lshl_b64 s[20:21], s[18:19], 3
	s_mov_b64 s[22:23], 0
	v_mov_b32_e32 v16, 0
	s_mov_b64 s[24:25], s[10:11]
.LBB3_855:                              ;   Parent Loop BB3_852 Depth=1
                                        ; =>  This Inner Loop Header: Depth=2
	global_load_ubyte v2, v3, s[24:25]
	s_waitcnt vmcnt(0)
	v_and_b32_e32 v2, 0xffff, v2
	v_lshlrev_b64 v[9:10], s22, v[2:3]
	s_add_u32 s22, s22, 8
	s_addc_u32 s23, s23, 0
	s_add_u32 s24, s24, 1
	s_addc_u32 s25, s25, 0
	v_or_b32_e32 v15, v9, v15
	s_cmp_lg_u32 s20, s22
	v_or_b32_e32 v16, v10, v16
	s_cbranch_scc1 .LBB3_855
.LBB3_856:                              ;   in Loop: Header=BB3_852 Depth=1
	s_mov_b32 s15, 0
	s_andn2_b64 vcc, exec, s[4:5]
	s_mov_b64 s[4:5], s[10:11]
	s_cbranch_vccz .LBB3_858
	s_branch .LBB3_859
.LBB3_857:                              ;   in Loop: Header=BB3_852 Depth=1
                                        ; implicit-def: $vgpr15_vgpr16
                                        ; implicit-def: $sgpr15
	s_mov_b64 s[4:5], s[10:11]
.LBB3_858:                              ;   in Loop: Header=BB3_852 Depth=1
	global_load_dwordx2 v[15:16], v3, s[10:11]
	s_add_i32 s15, s18, -8
	s_add_u32 s4, s10, 8
	s_addc_u32 s5, s11, 0
.LBB3_859:                              ;   in Loop: Header=BB3_852 Depth=1
	s_cmp_gt_u32 s15, 7
	s_cbranch_scc1 .LBB3_863
; %bb.860:                              ;   in Loop: Header=BB3_852 Depth=1
	s_cmp_eq_u32 s15, 0
	s_cbranch_scc1 .LBB3_864
; %bb.861:                              ;   in Loop: Header=BB3_852 Depth=1
	v_mov_b32_e32 v17, 0
	s_mov_b64 s[20:21], 0
	v_mov_b32_e32 v18, 0
	s_mov_b64 s[22:23], 0
.LBB3_862:                              ;   Parent Loop BB3_852 Depth=1
                                        ; =>  This Inner Loop Header: Depth=2
	s_add_u32 s24, s4, s22
	s_addc_u32 s25, s5, s23
	global_load_ubyte v2, v3, s[24:25]
	s_add_u32 s22, s22, 1
	s_addc_u32 s23, s23, 0
	s_waitcnt vmcnt(0)
	v_and_b32_e32 v2, 0xffff, v2
	v_lshlrev_b64 v[9:10], s20, v[2:3]
	s_add_u32 s20, s20, 8
	s_addc_u32 s21, s21, 0
	v_or_b32_e32 v17, v9, v17
	s_cmp_lg_u32 s15, s22
	v_or_b32_e32 v18, v10, v18
	s_cbranch_scc1 .LBB3_862
	s_branch .LBB3_865
.LBB3_863:                              ;   in Loop: Header=BB3_852 Depth=1
                                        ; implicit-def: $vgpr17_vgpr18
                                        ; implicit-def: $sgpr24
	s_branch .LBB3_866
.LBB3_864:                              ;   in Loop: Header=BB3_852 Depth=1
	v_mov_b32_e32 v17, 0
	v_mov_b32_e32 v18, 0
.LBB3_865:                              ;   in Loop: Header=BB3_852 Depth=1
	s_mov_b32 s24, 0
	s_cbranch_execnz .LBB3_867
.LBB3_866:                              ;   in Loop: Header=BB3_852 Depth=1
	global_load_dwordx2 v[17:18], v3, s[4:5]
	s_add_i32 s24, s15, -8
	s_add_u32 s4, s4, 8
	s_addc_u32 s5, s5, 0
.LBB3_867:                              ;   in Loop: Header=BB3_852 Depth=1
	s_cmp_gt_u32 s24, 7
	s_cbranch_scc1 .LBB3_871
; %bb.868:                              ;   in Loop: Header=BB3_852 Depth=1
	s_cmp_eq_u32 s24, 0
	s_cbranch_scc1 .LBB3_872
; %bb.869:                              ;   in Loop: Header=BB3_852 Depth=1
	v_mov_b32_e32 v19, 0
	s_mov_b64 s[20:21], 0
	v_mov_b32_e32 v20, 0
	s_mov_b64 s[22:23], 0
.LBB3_870:                              ;   Parent Loop BB3_852 Depth=1
                                        ; =>  This Inner Loop Header: Depth=2
	s_add_u32 s26, s4, s22
	s_addc_u32 s27, s5, s23
	global_load_ubyte v2, v3, s[26:27]
	s_add_u32 s22, s22, 1
	s_addc_u32 s23, s23, 0
	s_waitcnt vmcnt(0)
	v_and_b32_e32 v2, 0xffff, v2
	v_lshlrev_b64 v[9:10], s20, v[2:3]
	s_add_u32 s20, s20, 8
	s_addc_u32 s21, s21, 0
	v_or_b32_e32 v19, v9, v19
	s_cmp_lg_u32 s24, s22
	v_or_b32_e32 v20, v10, v20
	s_cbranch_scc1 .LBB3_870
	s_branch .LBB3_873
.LBB3_871:                              ;   in Loop: Header=BB3_852 Depth=1
                                        ; implicit-def: $sgpr15
	s_branch .LBB3_874
.LBB3_872:                              ;   in Loop: Header=BB3_852 Depth=1
	v_mov_b32_e32 v19, 0
	v_mov_b32_e32 v20, 0
.LBB3_873:                              ;   in Loop: Header=BB3_852 Depth=1
	s_mov_b32 s15, 0
	s_cbranch_execnz .LBB3_875
.LBB3_874:                              ;   in Loop: Header=BB3_852 Depth=1
	global_load_dwordx2 v[19:20], v3, s[4:5]
	s_add_i32 s15, s24, -8
	s_add_u32 s4, s4, 8
	s_addc_u32 s5, s5, 0
.LBB3_875:                              ;   in Loop: Header=BB3_852 Depth=1
	s_cmp_gt_u32 s15, 7
	s_cbranch_scc1 .LBB3_879
; %bb.876:                              ;   in Loop: Header=BB3_852 Depth=1
	s_cmp_eq_u32 s15, 0
	s_cbranch_scc1 .LBB3_880
; %bb.877:                              ;   in Loop: Header=BB3_852 Depth=1
	v_mov_b32_e32 v21, 0
	s_mov_b64 s[20:21], 0
	v_mov_b32_e32 v22, 0
	s_mov_b64 s[22:23], 0
.LBB3_878:                              ;   Parent Loop BB3_852 Depth=1
                                        ; =>  This Inner Loop Header: Depth=2
	s_add_u32 s24, s4, s22
	s_addc_u32 s25, s5, s23
	global_load_ubyte v2, v3, s[24:25]
	s_add_u32 s22, s22, 1
	s_addc_u32 s23, s23, 0
	s_waitcnt vmcnt(0)
	v_and_b32_e32 v2, 0xffff, v2
	v_lshlrev_b64 v[9:10], s20, v[2:3]
	s_add_u32 s20, s20, 8
	s_addc_u32 s21, s21, 0
	v_or_b32_e32 v21, v9, v21
	s_cmp_lg_u32 s15, s22
	v_or_b32_e32 v22, v10, v22
	s_cbranch_scc1 .LBB3_878
	s_branch .LBB3_881
.LBB3_879:                              ;   in Loop: Header=BB3_852 Depth=1
                                        ; implicit-def: $vgpr21_vgpr22
                                        ; implicit-def: $sgpr24
	s_branch .LBB3_882
.LBB3_880:                              ;   in Loop: Header=BB3_852 Depth=1
	v_mov_b32_e32 v21, 0
	v_mov_b32_e32 v22, 0
.LBB3_881:                              ;   in Loop: Header=BB3_852 Depth=1
	s_mov_b32 s24, 0
	s_cbranch_execnz .LBB3_883
.LBB3_882:                              ;   in Loop: Header=BB3_852 Depth=1
	global_load_dwordx2 v[21:22], v3, s[4:5]
	s_add_i32 s24, s15, -8
	s_add_u32 s4, s4, 8
	s_addc_u32 s5, s5, 0
.LBB3_883:                              ;   in Loop: Header=BB3_852 Depth=1
	s_cmp_gt_u32 s24, 7
	s_cbranch_scc1 .LBB3_887
; %bb.884:                              ;   in Loop: Header=BB3_852 Depth=1
	s_cmp_eq_u32 s24, 0
	s_cbranch_scc1 .LBB3_888
; %bb.885:                              ;   in Loop: Header=BB3_852 Depth=1
	v_mov_b32_e32 v23, 0
	s_mov_b64 s[20:21], 0
	v_mov_b32_e32 v24, 0
	s_mov_b64 s[22:23], 0
.LBB3_886:                              ;   Parent Loop BB3_852 Depth=1
                                        ; =>  This Inner Loop Header: Depth=2
	s_add_u32 s26, s4, s22
	s_addc_u32 s27, s5, s23
	global_load_ubyte v2, v3, s[26:27]
	s_add_u32 s22, s22, 1
	s_addc_u32 s23, s23, 0
	s_waitcnt vmcnt(0)
	v_and_b32_e32 v2, 0xffff, v2
	v_lshlrev_b64 v[9:10], s20, v[2:3]
	s_add_u32 s20, s20, 8
	s_addc_u32 s21, s21, 0
	v_or_b32_e32 v23, v9, v23
	s_cmp_lg_u32 s24, s22
	v_or_b32_e32 v24, v10, v24
	s_cbranch_scc1 .LBB3_886
	s_branch .LBB3_889
.LBB3_887:                              ;   in Loop: Header=BB3_852 Depth=1
                                        ; implicit-def: $sgpr15
	s_branch .LBB3_890
.LBB3_888:                              ;   in Loop: Header=BB3_852 Depth=1
	v_mov_b32_e32 v23, 0
	v_mov_b32_e32 v24, 0
.LBB3_889:                              ;   in Loop: Header=BB3_852 Depth=1
	s_mov_b32 s15, 0
	s_cbranch_execnz .LBB3_891
.LBB3_890:                              ;   in Loop: Header=BB3_852 Depth=1
	global_load_dwordx2 v[23:24], v3, s[4:5]
	s_add_i32 s15, s24, -8
	s_add_u32 s4, s4, 8
	s_addc_u32 s5, s5, 0
.LBB3_891:                              ;   in Loop: Header=BB3_852 Depth=1
	s_cmp_gt_u32 s15, 7
	s_cbranch_scc1 .LBB3_895
; %bb.892:                              ;   in Loop: Header=BB3_852 Depth=1
	s_cmp_eq_u32 s15, 0
	s_cbranch_scc1 .LBB3_896
; %bb.893:                              ;   in Loop: Header=BB3_852 Depth=1
	v_mov_b32_e32 v25, 0
	s_mov_b64 s[20:21], 0
	v_mov_b32_e32 v26, 0
	s_mov_b64 s[22:23], 0
.LBB3_894:                              ;   Parent Loop BB3_852 Depth=1
                                        ; =>  This Inner Loop Header: Depth=2
	s_add_u32 s24, s4, s22
	s_addc_u32 s25, s5, s23
	global_load_ubyte v2, v3, s[24:25]
	s_add_u32 s22, s22, 1
	s_addc_u32 s23, s23, 0
	s_waitcnt vmcnt(0)
	v_and_b32_e32 v2, 0xffff, v2
	v_lshlrev_b64 v[9:10], s20, v[2:3]
	s_add_u32 s20, s20, 8
	s_addc_u32 s21, s21, 0
	v_or_b32_e32 v25, v9, v25
	s_cmp_lg_u32 s15, s22
	v_or_b32_e32 v26, v10, v26
	s_cbranch_scc1 .LBB3_894
	s_branch .LBB3_897
.LBB3_895:                              ;   in Loop: Header=BB3_852 Depth=1
                                        ; implicit-def: $vgpr25_vgpr26
                                        ; implicit-def: $sgpr24
	s_branch .LBB3_898
.LBB3_896:                              ;   in Loop: Header=BB3_852 Depth=1
	v_mov_b32_e32 v25, 0
	v_mov_b32_e32 v26, 0
.LBB3_897:                              ;   in Loop: Header=BB3_852 Depth=1
	s_mov_b32 s24, 0
	s_cbranch_execnz .LBB3_899
.LBB3_898:                              ;   in Loop: Header=BB3_852 Depth=1
	global_load_dwordx2 v[25:26], v3, s[4:5]
	s_add_i32 s24, s15, -8
	s_add_u32 s4, s4, 8
	s_addc_u32 s5, s5, 0
.LBB3_899:                              ;   in Loop: Header=BB3_852 Depth=1
	s_cmp_gt_u32 s24, 7
	s_cbranch_scc1 .LBB3_903
; %bb.900:                              ;   in Loop: Header=BB3_852 Depth=1
	s_cmp_eq_u32 s24, 0
	s_cbranch_scc1 .LBB3_904
; %bb.901:                              ;   in Loop: Header=BB3_852 Depth=1
	v_mov_b32_e32 v27, 0
	s_mov_b64 s[20:21], 0
	v_mov_b32_e32 v28, 0
	s_mov_b64 s[22:23], s[4:5]
.LBB3_902:                              ;   Parent Loop BB3_852 Depth=1
                                        ; =>  This Inner Loop Header: Depth=2
	global_load_ubyte v2, v3, s[22:23]
	s_add_i32 s24, s24, -1
	s_waitcnt vmcnt(0)
	v_and_b32_e32 v2, 0xffff, v2
	v_lshlrev_b64 v[9:10], s20, v[2:3]
	s_add_u32 s20, s20, 8
	s_addc_u32 s21, s21, 0
	s_add_u32 s22, s22, 1
	s_addc_u32 s23, s23, 0
	v_or_b32_e32 v27, v9, v27
	s_cmp_lg_u32 s24, 0
	v_or_b32_e32 v28, v10, v28
	s_cbranch_scc1 .LBB3_902
	s_branch .LBB3_905
.LBB3_903:                              ;   in Loop: Header=BB3_852 Depth=1
	s_branch .LBB3_906
.LBB3_904:                              ;   in Loop: Header=BB3_852 Depth=1
	v_mov_b32_e32 v27, 0
	v_mov_b32_e32 v28, 0
.LBB3_905:                              ;   in Loop: Header=BB3_852 Depth=1
	s_cbranch_execnz .LBB3_907
.LBB3_906:                              ;   in Loop: Header=BB3_852 Depth=1
	global_load_dwordx2 v[27:28], v3, s[4:5]
.LBB3_907:                              ;   in Loop: Header=BB3_852 Depth=1
	v_readfirstlane_b32 s4, v51
	s_waitcnt vmcnt(0)
	v_mov_b32_e32 v9, 0
	v_mov_b32_e32 v10, 0
	v_cmp_eq_u32_e64 s[4:5], s4, v51
	s_and_saveexec_b64 s[20:21], s[4:5]
	s_cbranch_execz .LBB3_913
; %bb.908:                              ;   in Loop: Header=BB3_852 Depth=1
	global_load_dwordx2 v[31:32], v3, s[44:45] offset:24 glc
	s_waitcnt vmcnt(0)
	buffer_wbinvl1_vol
	global_load_dwordx2 v[9:10], v3, s[44:45] offset:40
	global_load_dwordx2 v[13:14], v3, s[44:45]
	s_waitcnt vmcnt(1)
	v_and_b32_e32 v2, v9, v31
	v_and_b32_e32 v9, v10, v32
	v_mul_lo_u32 v9, v9, 24
	v_mul_hi_u32 v10, v2, 24
	v_mul_lo_u32 v2, v2, 24
	v_add_u32_e32 v10, v10, v9
	s_waitcnt vmcnt(0)
	v_add_co_u32_e32 v9, vcc, v13, v2
	v_addc_co_u32_e32 v10, vcc, v14, v10, vcc
	global_load_dwordx2 v[29:30], v[9:10], off glc
	s_waitcnt vmcnt(0)
	global_atomic_cmpswap_x2 v[9:10], v3, v[29:32], s[44:45] offset:24 glc
	s_waitcnt vmcnt(0)
	buffer_wbinvl1_vol
	v_cmp_ne_u64_e32 vcc, v[9:10], v[31:32]
	s_and_saveexec_b64 s[22:23], vcc
	s_cbranch_execz .LBB3_912
; %bb.909:                              ;   in Loop: Header=BB3_852 Depth=1
	s_mov_b64 s[24:25], 0
.LBB3_910:                              ;   Parent Loop BB3_852 Depth=1
                                        ; =>  This Inner Loop Header: Depth=2
	s_sleep 1
	global_load_dwordx2 v[13:14], v3, s[44:45] offset:40
	global_load_dwordx2 v[29:30], v3, s[44:45]
	v_mov_b32_e32 v32, v10
	v_mov_b32_e32 v31, v9
	s_waitcnt vmcnt(1)
	v_and_b32_e32 v2, v13, v31
	s_waitcnt vmcnt(0)
	v_mad_u64_u32 v[9:10], s[26:27], v2, 24, v[29:30]
	v_and_b32_e32 v13, v14, v32
	v_mov_b32_e32 v2, v10
	v_mad_u64_u32 v[13:14], s[26:27], v13, 24, v[2:3]
	v_mov_b32_e32 v10, v13
	global_load_dwordx2 v[29:30], v[9:10], off glc
	s_waitcnt vmcnt(0)
	global_atomic_cmpswap_x2 v[9:10], v3, v[29:32], s[44:45] offset:24 glc
	s_waitcnt vmcnt(0)
	buffer_wbinvl1_vol
	v_cmp_eq_u64_e32 vcc, v[9:10], v[31:32]
	s_or_b64 s[24:25], vcc, s[24:25]
	s_andn2_b64 exec, exec, s[24:25]
	s_cbranch_execnz .LBB3_910
; %bb.911:                              ;   in Loop: Header=BB3_852 Depth=1
	s_or_b64 exec, exec, s[24:25]
.LBB3_912:                              ;   in Loop: Header=BB3_852 Depth=1
	s_or_b64 exec, exec, s[22:23]
.LBB3_913:                              ;   in Loop: Header=BB3_852 Depth=1
	s_or_b64 exec, exec, s[20:21]
	global_load_dwordx2 v[13:14], v3, s[44:45] offset:40
	global_load_dwordx4 v[29:32], v3, s[44:45]
	v_readfirstlane_b32 s20, v9
	v_readfirstlane_b32 s21, v10
	s_mov_b64 s[22:23], exec
	s_waitcnt vmcnt(1)
	v_readfirstlane_b32 s24, v13
	v_readfirstlane_b32 s25, v14
	s_and_b64 s[24:25], s[20:21], s[24:25]
	s_mul_i32 s15, s25, 24
	s_mul_hi_u32 s26, s24, 24
	s_mul_i32 s27, s24, 24
	s_add_i32 s15, s26, s15
	v_mov_b32_e32 v2, s15
	s_waitcnt vmcnt(0)
	v_add_co_u32_e32 v33, vcc, s27, v29
	v_addc_co_u32_e32 v34, vcc, v30, v2, vcc
	s_and_saveexec_b64 s[26:27], s[4:5]
	s_cbranch_execz .LBB3_915
; %bb.914:                              ;   in Loop: Header=BB3_852 Depth=1
	v_mov_b32_e32 v9, s22
	v_mov_b32_e32 v10, s23
	global_store_dwordx4 v[33:34], v[9:12], off offset:8
.LBB3_915:                              ;   in Loop: Header=BB3_852 Depth=1
	s_or_b64 exec, exec, s[26:27]
	s_lshl_b64 s[22:23], s[24:25], 12
	v_mov_b32_e32 v2, s23
	v_add_co_u32_e32 v31, vcc, s22, v31
	v_addc_co_u32_e32 v32, vcc, v32, v2, vcc
	v_cmp_gt_u64_e64 vcc, s[16:17], 56
	v_or_b32_e32 v2, 0, v8
	v_or_b32_e32 v9, v7, v35
	s_lshl_b32 s15, s18, 2
	v_cndmask_b32_e32 v14, v2, v8, vcc
	v_cndmask_b32_e32 v2, v9, v7, vcc
	s_add_i32 s15, s15, 28
	s_and_b32 s15, s15, 0x1e0
	v_and_b32_e32 v2, 0xffffff1f, v2
	v_or_b32_e32 v13, s15, v2
	v_readfirstlane_b32 s22, v31
	v_readfirstlane_b32 s23, v32
	s_nop 4
	global_store_dwordx4 v50, v[13:16], s[22:23]
	global_store_dwordx4 v50, v[17:20], s[22:23] offset:16
	global_store_dwordx4 v50, v[21:24], s[22:23] offset:32
	;; [unrolled: 1-line block ×3, first 2 shown]
	s_and_saveexec_b64 s[22:23], s[4:5]
	s_cbranch_execz .LBB3_923
; %bb.916:                              ;   in Loop: Header=BB3_852 Depth=1
	global_load_dwordx2 v[17:18], v3, s[44:45] offset:32 glc
	global_load_dwordx2 v[7:8], v3, s[44:45] offset:40
	v_mov_b32_e32 v15, s20
	v_mov_b32_e32 v16, s21
	s_waitcnt vmcnt(0)
	v_readfirstlane_b32 s24, v7
	v_readfirstlane_b32 s25, v8
	s_and_b64 s[24:25], s[24:25], s[20:21]
	s_mul_i32 s15, s25, 24
	s_mul_hi_u32 s25, s24, 24
	s_mul_i32 s24, s24, 24
	s_add_i32 s15, s25, s15
	v_mov_b32_e32 v2, s15
	v_add_co_u32_e32 v13, vcc, s24, v29
	v_addc_co_u32_e32 v14, vcc, v30, v2, vcc
	global_store_dwordx2 v[13:14], v[17:18], off
	s_waitcnt vmcnt(0)
	global_atomic_cmpswap_x2 v[9:10], v3, v[15:18], s[44:45] offset:32 glc
	s_waitcnt vmcnt(0)
	v_cmp_ne_u64_e32 vcc, v[9:10], v[17:18]
	s_and_saveexec_b64 s[24:25], vcc
	s_cbranch_execz .LBB3_919
; %bb.917:                              ;   in Loop: Header=BB3_852 Depth=1
	s_mov_b64 s[26:27], 0
.LBB3_918:                              ;   Parent Loop BB3_852 Depth=1
                                        ; =>  This Inner Loop Header: Depth=2
	s_sleep 1
	global_store_dwordx2 v[13:14], v[9:10], off
	v_mov_b32_e32 v7, s20
	v_mov_b32_e32 v8, s21
	s_waitcnt vmcnt(0)
	global_atomic_cmpswap_x2 v[7:8], v3, v[7:10], s[44:45] offset:32 glc
	s_waitcnt vmcnt(0)
	v_cmp_eq_u64_e32 vcc, v[7:8], v[9:10]
	v_mov_b32_e32 v10, v8
	s_or_b64 s[26:27], vcc, s[26:27]
	v_mov_b32_e32 v9, v7
	s_andn2_b64 exec, exec, s[26:27]
	s_cbranch_execnz .LBB3_918
.LBB3_919:                              ;   in Loop: Header=BB3_852 Depth=1
	s_or_b64 exec, exec, s[24:25]
	global_load_dwordx2 v[7:8], v3, s[44:45] offset:16
	s_mov_b64 s[26:27], exec
	v_mbcnt_lo_u32_b32 v2, s26, 0
	v_mbcnt_hi_u32_b32 v2, s27, v2
	v_cmp_eq_u32_e32 vcc, 0, v2
	s_and_saveexec_b64 s[24:25], vcc
	s_cbranch_execz .LBB3_921
; %bb.920:                              ;   in Loop: Header=BB3_852 Depth=1
	s_bcnt1_i32_b64 s15, s[26:27]
	v_mov_b32_e32 v2, s15
	s_waitcnt vmcnt(0)
	global_atomic_add_x2 v[7:8], v[2:3], off offset:8
.LBB3_921:                              ;   in Loop: Header=BB3_852 Depth=1
	s_or_b64 exec, exec, s[24:25]
	s_waitcnt vmcnt(0)
	global_load_dwordx2 v[9:10], v[7:8], off offset:16
	s_waitcnt vmcnt(0)
	v_cmp_eq_u64_e32 vcc, 0, v[9:10]
	s_cbranch_vccnz .LBB3_923
; %bb.922:                              ;   in Loop: Header=BB3_852 Depth=1
	global_load_dword v2, v[7:8], off offset:24
	s_waitcnt vmcnt(0)
	global_store_dwordx2 v[9:10], v[2:3], off
	v_and_b32_e32 v2, 0xffffff, v2
	v_readfirstlane_b32 m0, v2
	s_sendmsg sendmsg(MSG_INTERRUPT)
.LBB3_923:                              ;   in Loop: Header=BB3_852 Depth=1
	s_or_b64 exec, exec, s[22:23]
	v_add_co_u32_e32 v7, vcc, v31, v50
	v_addc_co_u32_e32 v8, vcc, 0, v32, vcc
	s_branch .LBB3_927
.LBB3_924:                              ;   in Loop: Header=BB3_927 Depth=2
	s_or_b64 exec, exec, s[22:23]
	v_readfirstlane_b32 s15, v2
	s_cmp_eq_u32 s15, 0
	s_cbranch_scc1 .LBB3_926
; %bb.925:                              ;   in Loop: Header=BB3_927 Depth=2
	s_sleep 1
	s_cbranch_execnz .LBB3_927
	s_branch .LBB3_929
.LBB3_926:                              ;   in Loop: Header=BB3_852 Depth=1
	s_branch .LBB3_929
.LBB3_927:                              ;   Parent Loop BB3_852 Depth=1
                                        ; =>  This Inner Loop Header: Depth=2
	v_mov_b32_e32 v2, 1
	s_and_saveexec_b64 s[22:23], s[4:5]
	s_cbranch_execz .LBB3_924
; %bb.928:                              ;   in Loop: Header=BB3_927 Depth=2
	global_load_dword v2, v[33:34], off offset:20 glc
	s_waitcnt vmcnt(0)
	buffer_wbinvl1_vol
	v_and_b32_e32 v2, 1, v2
	s_branch .LBB3_924
.LBB3_929:                              ;   in Loop: Header=BB3_852 Depth=1
	global_load_dwordx4 v[7:10], v[7:8], off
	s_and_saveexec_b64 s[22:23], s[4:5]
	s_cbranch_execz .LBB3_851
; %bb.930:                              ;   in Loop: Header=BB3_852 Depth=1
	global_load_dwordx2 v[9:10], v3, s[44:45] offset:40
	global_load_dwordx2 v[17:18], v3, s[44:45] offset:24 glc
	global_load_dwordx2 v[19:20], v3, s[44:45]
	v_mov_b32_e32 v2, s21
	s_waitcnt vmcnt(2)
	v_add_co_u32_e32 v15, vcc, 1, v9
	v_addc_co_u32_e32 v16, vcc, 0, v10, vcc
	v_add_co_u32_e32 v13, vcc, s20, v15
	v_addc_co_u32_e32 v14, vcc, v16, v2, vcc
	v_cmp_eq_u64_e32 vcc, 0, v[13:14]
	v_cndmask_b32_e32 v14, v14, v16, vcc
	v_cndmask_b32_e32 v13, v13, v15, vcc
	v_and_b32_e32 v2, v14, v10
	v_and_b32_e32 v9, v13, v9
	v_mul_lo_u32 v2, v2, 24
	v_mul_hi_u32 v10, v9, 24
	v_mul_lo_u32 v9, v9, 24
	s_waitcnt vmcnt(1)
	v_mov_b32_e32 v15, v17
	v_mov_b32_e32 v16, v18
	v_add_u32_e32 v2, v10, v2
	s_waitcnt vmcnt(0)
	v_add_co_u32_e32 v9, vcc, v19, v9
	v_addc_co_u32_e32 v10, vcc, v20, v2, vcc
	global_store_dwordx2 v[9:10], v[17:18], off
	s_waitcnt vmcnt(0)
	global_atomic_cmpswap_x2 v[15:16], v3, v[13:16], s[44:45] offset:24 glc
	s_waitcnt vmcnt(0)
	v_cmp_ne_u64_e32 vcc, v[15:16], v[17:18]
	s_and_b64 exec, exec, vcc
	s_cbranch_execz .LBB3_851
; %bb.931:                              ;   in Loop: Header=BB3_852 Depth=1
	s_mov_b64 s[4:5], 0
.LBB3_932:                              ;   Parent Loop BB3_852 Depth=1
                                        ; =>  This Inner Loop Header: Depth=2
	s_sleep 1
	global_store_dwordx2 v[9:10], v[15:16], off
	s_waitcnt vmcnt(0)
	global_atomic_cmpswap_x2 v[17:18], v3, v[13:16], s[44:45] offset:24 glc
	s_waitcnt vmcnt(0)
	v_cmp_eq_u64_e32 vcc, v[17:18], v[15:16]
	v_mov_b32_e32 v15, v17
	s_or_b64 s[4:5], vcc, s[4:5]
	v_mov_b32_e32 v16, v18
	s_andn2_b64 exec, exec, s[4:5]
	s_cbranch_execnz .LBB3_932
	s_branch .LBB3_851
.LBB3_933:
	s_branch .LBB3_961
.LBB3_934:
                                        ; implicit-def: $vgpr7_vgpr8
	s_cbranch_execz .LBB3_961
; %bb.935:
	v_readfirstlane_b32 s4, v51
	v_mov_b32_e32 v11, 0
	v_mov_b32_e32 v12, 0
	v_cmp_eq_u32_e64 s[4:5], s4, v51
	s_and_saveexec_b64 s[10:11], s[4:5]
	s_cbranch_execz .LBB3_941
; %bb.936:
	v_mov_b32_e32 v2, 0
	global_load_dwordx2 v[9:10], v2, s[44:45] offset:24 glc
	s_waitcnt vmcnt(0)
	buffer_wbinvl1_vol
	global_load_dwordx2 v[7:8], v2, s[44:45] offset:40
	global_load_dwordx2 v[11:12], v2, s[44:45]
	s_waitcnt vmcnt(1)
	v_and_b32_e32 v3, v7, v9
	v_and_b32_e32 v7, v8, v10
	v_mul_lo_u32 v7, v7, 24
	v_mul_hi_u32 v8, v3, 24
	v_mul_lo_u32 v3, v3, 24
	v_add_u32_e32 v8, v8, v7
	s_waitcnt vmcnt(0)
	v_add_co_u32_e32 v7, vcc, v11, v3
	v_addc_co_u32_e32 v8, vcc, v12, v8, vcc
	global_load_dwordx2 v[7:8], v[7:8], off glc
	s_waitcnt vmcnt(0)
	global_atomic_cmpswap_x2 v[11:12], v2, v[7:10], s[44:45] offset:24 glc
	s_waitcnt vmcnt(0)
	buffer_wbinvl1_vol
	v_cmp_ne_u64_e32 vcc, v[11:12], v[9:10]
	s_and_saveexec_b64 s[16:17], vcc
	s_cbranch_execz .LBB3_940
; %bb.937:
	s_mov_b64 s[18:19], 0
.LBB3_938:                              ; =>This Inner Loop Header: Depth=1
	s_sleep 1
	global_load_dwordx2 v[7:8], v2, s[44:45] offset:40
	global_load_dwordx2 v[13:14], v2, s[44:45]
	v_mov_b32_e32 v9, v11
	v_mov_b32_e32 v10, v12
	s_waitcnt vmcnt(1)
	v_and_b32_e32 v3, v7, v9
	s_waitcnt vmcnt(0)
	v_mad_u64_u32 v[11:12], s[20:21], v3, 24, v[13:14]
	v_and_b32_e32 v7, v8, v10
	v_mov_b32_e32 v3, v12
	v_mad_u64_u32 v[7:8], s[20:21], v7, 24, v[3:4]
	v_mov_b32_e32 v12, v7
	global_load_dwordx2 v[7:8], v[11:12], off glc
	s_waitcnt vmcnt(0)
	global_atomic_cmpswap_x2 v[11:12], v2, v[7:10], s[44:45] offset:24 glc
	s_waitcnt vmcnt(0)
	buffer_wbinvl1_vol
	v_cmp_eq_u64_e32 vcc, v[11:12], v[9:10]
	s_or_b64 s[18:19], vcc, s[18:19]
	s_andn2_b64 exec, exec, s[18:19]
	s_cbranch_execnz .LBB3_938
; %bb.939:
	s_or_b64 exec, exec, s[18:19]
.LBB3_940:
	s_or_b64 exec, exec, s[16:17]
.LBB3_941:
	s_or_b64 exec, exec, s[10:11]
	v_mov_b32_e32 v2, 0
	global_load_dwordx2 v[13:14], v2, s[44:45] offset:40
	global_load_dwordx4 v[7:10], v2, s[44:45]
	v_readfirstlane_b32 s10, v11
	v_readfirstlane_b32 s11, v12
	s_mov_b64 s[16:17], exec
	s_waitcnt vmcnt(1)
	v_readfirstlane_b32 s18, v13
	v_readfirstlane_b32 s19, v14
	s_and_b64 s[18:19], s[10:11], s[18:19]
	s_mul_i32 s15, s19, 24
	s_mul_hi_u32 s20, s18, 24
	s_mul_i32 s21, s18, 24
	s_add_i32 s15, s20, s15
	v_mov_b32_e32 v3, s15
	s_waitcnt vmcnt(0)
	v_add_co_u32_e32 v11, vcc, s21, v7
	v_addc_co_u32_e32 v12, vcc, v8, v3, vcc
	s_and_saveexec_b64 s[20:21], s[4:5]
	s_cbranch_execz .LBB3_943
; %bb.942:
	v_mov_b32_e32 v13, s16
	v_mov_b32_e32 v14, s17
	;; [unrolled: 1-line block ×4, first 2 shown]
	global_store_dwordx4 v[11:12], v[13:16], off offset:8
.LBB3_943:
	s_or_b64 exec, exec, s[20:21]
	s_lshl_b64 s[16:17], s[18:19], 12
	v_mov_b32_e32 v3, s17
	v_add_co_u32_e32 v13, vcc, s16, v9
	v_addc_co_u32_e32 v14, vcc, v10, v3, vcc
	s_movk_i32 s15, 0xff1f
	v_and_or_b32 v0, v0, s15, 32
	s_mov_b32 s16, 0
	v_mov_b32_e32 v3, v2
	v_readfirstlane_b32 s20, v13
	v_readfirstlane_b32 s21, v14
	v_add_co_u32_e32 v9, vcc, v13, v50
	s_mov_b32 s17, s16
	s_mov_b32 s18, s16
	;; [unrolled: 1-line block ×3, first 2 shown]
	s_nop 0
	global_store_dwordx4 v50, v[0:3], s[20:21]
	v_addc_co_u32_e32 v10, vcc, 0, v14, vcc
	v_mov_b32_e32 v0, s16
	v_mov_b32_e32 v1, s17
	;; [unrolled: 1-line block ×4, first 2 shown]
	global_store_dwordx4 v50, v[0:3], s[20:21] offset:16
	global_store_dwordx4 v50, v[0:3], s[20:21] offset:32
	;; [unrolled: 1-line block ×3, first 2 shown]
	s_and_saveexec_b64 s[16:17], s[4:5]
	s_cbranch_execz .LBB3_951
; %bb.944:
	v_mov_b32_e32 v13, 0
	global_load_dwordx2 v[16:17], v13, s[44:45] offset:32 glc
	global_load_dwordx2 v[0:1], v13, s[44:45] offset:40
	v_mov_b32_e32 v14, s10
	v_mov_b32_e32 v15, s11
	s_waitcnt vmcnt(0)
	v_readfirstlane_b32 s18, v0
	v_readfirstlane_b32 s19, v1
	s_and_b64 s[18:19], s[18:19], s[10:11]
	s_mul_i32 s15, s19, 24
	s_mul_hi_u32 s19, s18, 24
	s_mul_i32 s18, s18, 24
	s_add_i32 s15, s19, s15
	v_mov_b32_e32 v0, s15
	v_add_co_u32_e32 v7, vcc, s18, v7
	v_addc_co_u32_e32 v8, vcc, v8, v0, vcc
	global_store_dwordx2 v[7:8], v[16:17], off
	s_waitcnt vmcnt(0)
	global_atomic_cmpswap_x2 v[2:3], v13, v[14:17], s[44:45] offset:32 glc
	s_waitcnt vmcnt(0)
	v_cmp_ne_u64_e32 vcc, v[2:3], v[16:17]
	s_and_saveexec_b64 s[18:19], vcc
	s_cbranch_execz .LBB3_947
; %bb.945:
	s_mov_b64 s[20:21], 0
.LBB3_946:                              ; =>This Inner Loop Header: Depth=1
	s_sleep 1
	global_store_dwordx2 v[7:8], v[2:3], off
	v_mov_b32_e32 v0, s10
	v_mov_b32_e32 v1, s11
	s_waitcnt vmcnt(0)
	global_atomic_cmpswap_x2 v[0:1], v13, v[0:3], s[44:45] offset:32 glc
	s_waitcnt vmcnt(0)
	v_cmp_eq_u64_e32 vcc, v[0:1], v[2:3]
	v_mov_b32_e32 v3, v1
	s_or_b64 s[20:21], vcc, s[20:21]
	v_mov_b32_e32 v2, v0
	s_andn2_b64 exec, exec, s[20:21]
	s_cbranch_execnz .LBB3_946
.LBB3_947:
	s_or_b64 exec, exec, s[18:19]
	v_mov_b32_e32 v3, 0
	global_load_dwordx2 v[0:1], v3, s[44:45] offset:16
	s_mov_b64 s[18:19], exec
	v_mbcnt_lo_u32_b32 v2, s18, 0
	v_mbcnt_hi_u32_b32 v2, s19, v2
	v_cmp_eq_u32_e32 vcc, 0, v2
	s_and_saveexec_b64 s[20:21], vcc
	s_cbranch_execz .LBB3_949
; %bb.948:
	s_bcnt1_i32_b64 s15, s[18:19]
	v_mov_b32_e32 v2, s15
	s_waitcnt vmcnt(0)
	global_atomic_add_x2 v[0:1], v[2:3], off offset:8
.LBB3_949:
	s_or_b64 exec, exec, s[20:21]
	s_waitcnt vmcnt(0)
	global_load_dwordx2 v[2:3], v[0:1], off offset:16
	s_waitcnt vmcnt(0)
	v_cmp_eq_u64_e32 vcc, 0, v[2:3]
	s_cbranch_vccnz .LBB3_951
; %bb.950:
	global_load_dword v0, v[0:1], off offset:24
	v_mov_b32_e32 v1, 0
	s_waitcnt vmcnt(0)
	global_store_dwordx2 v[2:3], v[0:1], off
	v_and_b32_e32 v0, 0xffffff, v0
	v_readfirstlane_b32 m0, v0
	s_sendmsg sendmsg(MSG_INTERRUPT)
.LBB3_951:
	s_or_b64 exec, exec, s[16:17]
	s_branch .LBB3_955
.LBB3_952:                              ;   in Loop: Header=BB3_955 Depth=1
	s_or_b64 exec, exec, s[16:17]
	v_readfirstlane_b32 s15, v0
	s_cmp_eq_u32 s15, 0
	s_cbranch_scc1 .LBB3_954
; %bb.953:                              ;   in Loop: Header=BB3_955 Depth=1
	s_sleep 1
	s_cbranch_execnz .LBB3_955
	s_branch .LBB3_957
.LBB3_954:
	s_branch .LBB3_957
.LBB3_955:                              ; =>This Inner Loop Header: Depth=1
	v_mov_b32_e32 v0, 1
	s_and_saveexec_b64 s[16:17], s[4:5]
	s_cbranch_execz .LBB3_952
; %bb.956:                              ;   in Loop: Header=BB3_955 Depth=1
	global_load_dword v0, v[11:12], off offset:20 glc
	s_waitcnt vmcnt(0)
	buffer_wbinvl1_vol
	v_and_b32_e32 v0, 1, v0
	s_branch .LBB3_952
.LBB3_957:
	global_load_dwordx2 v[7:8], v[9:10], off
	s_and_saveexec_b64 s[16:17], s[4:5]
	s_cbranch_execz .LBB3_960
; %bb.958:
	v_mov_b32_e32 v11, 0
	global_load_dwordx2 v[2:3], v11, s[44:45] offset:40
	global_load_dwordx2 v[12:13], v11, s[44:45] offset:24 glc
	global_load_dwordx2 v[9:10], v11, s[44:45]
	v_mov_b32_e32 v1, s11
	s_mov_b64 s[4:5], 0
	s_waitcnt vmcnt(2)
	v_add_co_u32_e32 v14, vcc, 1, v2
	v_addc_co_u32_e32 v15, vcc, 0, v3, vcc
	v_add_co_u32_e32 v0, vcc, s10, v14
	v_addc_co_u32_e32 v1, vcc, v15, v1, vcc
	v_cmp_eq_u64_e32 vcc, 0, v[0:1]
	v_cndmask_b32_e32 v1, v1, v15, vcc
	v_cndmask_b32_e32 v0, v0, v14, vcc
	v_and_b32_e32 v3, v1, v3
	v_and_b32_e32 v2, v0, v2
	v_mul_lo_u32 v3, v3, 24
	v_mul_hi_u32 v14, v2, 24
	v_mul_lo_u32 v15, v2, 24
	s_waitcnt vmcnt(1)
	v_mov_b32_e32 v2, v12
	v_add_u32_e32 v3, v14, v3
	s_waitcnt vmcnt(0)
	v_add_co_u32_e32 v9, vcc, v9, v15
	v_addc_co_u32_e32 v10, vcc, v10, v3, vcc
	global_store_dwordx2 v[9:10], v[12:13], off
	v_mov_b32_e32 v3, v13
	s_waitcnt vmcnt(0)
	global_atomic_cmpswap_x2 v[2:3], v11, v[0:3], s[44:45] offset:24 glc
	s_waitcnt vmcnt(0)
	v_cmp_ne_u64_e32 vcc, v[2:3], v[12:13]
	s_and_b64 exec, exec, vcc
	s_cbranch_execz .LBB3_960
.LBB3_959:                              ; =>This Inner Loop Header: Depth=1
	s_sleep 1
	global_store_dwordx2 v[9:10], v[2:3], off
	s_waitcnt vmcnt(0)
	global_atomic_cmpswap_x2 v[12:13], v11, v[0:3], s[44:45] offset:24 glc
	s_waitcnt vmcnt(0)
	v_cmp_eq_u64_e32 vcc, v[12:13], v[2:3]
	v_mov_b32_e32 v2, v12
	s_or_b64 s[4:5], vcc, s[4:5]
	v_mov_b32_e32 v3, v13
	s_andn2_b64 exec, exec, s[4:5]
	s_cbranch_execnz .LBB3_959
.LBB3_960:
	s_or_b64 exec, exec, s[16:17]
.LBB3_961:
	v_readfirstlane_b32 s4, v51
	s_waitcnt vmcnt(0)
	v_mov_b32_e32 v9, 0
	v_mov_b32_e32 v10, 0
	v_cmp_eq_u32_e64 s[4:5], s4, v51
	s_and_saveexec_b64 s[10:11], s[4:5]
	s_cbranch_execz .LBB3_967
; %bb.962:
	v_mov_b32_e32 v0, 0
	global_load_dwordx2 v[11:12], v0, s[44:45] offset:24 glc
	s_waitcnt vmcnt(0)
	buffer_wbinvl1_vol
	global_load_dwordx2 v[1:2], v0, s[44:45] offset:40
	global_load_dwordx2 v[9:10], v0, s[44:45]
	s_waitcnt vmcnt(1)
	v_and_b32_e32 v1, v1, v11
	v_and_b32_e32 v2, v2, v12
	v_mul_lo_u32 v2, v2, 24
	v_mul_hi_u32 v3, v1, 24
	v_mul_lo_u32 v1, v1, 24
	v_add_u32_e32 v2, v3, v2
	s_waitcnt vmcnt(0)
	v_add_co_u32_e32 v1, vcc, v9, v1
	v_addc_co_u32_e32 v2, vcc, v10, v2, vcc
	global_load_dwordx2 v[9:10], v[1:2], off glc
	s_waitcnt vmcnt(0)
	global_atomic_cmpswap_x2 v[9:10], v0, v[9:12], s[44:45] offset:24 glc
	s_waitcnt vmcnt(0)
	buffer_wbinvl1_vol
	v_cmp_ne_u64_e32 vcc, v[9:10], v[11:12]
	s_and_saveexec_b64 s[16:17], vcc
	s_cbranch_execz .LBB3_966
; %bb.963:
	s_mov_b64 s[18:19], 0
.LBB3_964:                              ; =>This Inner Loop Header: Depth=1
	s_sleep 1
	global_load_dwordx2 v[1:2], v0, s[44:45] offset:40
	global_load_dwordx2 v[13:14], v0, s[44:45]
	v_mov_b32_e32 v12, v10
	v_mov_b32_e32 v11, v9
	s_waitcnt vmcnt(1)
	v_and_b32_e32 v1, v1, v11
	s_waitcnt vmcnt(0)
	v_mad_u64_u32 v[9:10], s[20:21], v1, 24, v[13:14]
	v_and_b32_e32 v2, v2, v12
	v_mov_b32_e32 v1, v10
	v_mad_u64_u32 v[1:2], s[20:21], v2, 24, v[1:2]
	v_mov_b32_e32 v10, v1
	global_load_dwordx2 v[9:10], v[9:10], off glc
	s_waitcnt vmcnt(0)
	global_atomic_cmpswap_x2 v[9:10], v0, v[9:12], s[44:45] offset:24 glc
	s_waitcnt vmcnt(0)
	buffer_wbinvl1_vol
	v_cmp_eq_u64_e32 vcc, v[9:10], v[11:12]
	s_or_b64 s[18:19], vcc, s[18:19]
	s_andn2_b64 exec, exec, s[18:19]
	s_cbranch_execnz .LBB3_964
; %bb.965:
	s_or_b64 exec, exec, s[18:19]
.LBB3_966:
	s_or_b64 exec, exec, s[16:17]
.LBB3_967:
	s_or_b64 exec, exec, s[10:11]
	v_mov_b32_e32 v13, 0
	global_load_dwordx2 v[11:12], v13, s[44:45] offset:40
	global_load_dwordx4 v[0:3], v13, s[44:45]
	v_readfirstlane_b32 s10, v9
	v_readfirstlane_b32 s11, v10
	s_mov_b64 s[16:17], exec
	s_waitcnt vmcnt(1)
	v_readfirstlane_b32 s18, v11
	v_readfirstlane_b32 s19, v12
	s_and_b64 s[18:19], s[10:11], s[18:19]
	s_mul_i32 s15, s19, 24
	s_mul_hi_u32 s20, s18, 24
	s_mul_i32 s21, s18, 24
	s_add_i32 s15, s20, s15
	v_mov_b32_e32 v9, s15
	s_waitcnt vmcnt(0)
	v_add_co_u32_e32 v11, vcc, s21, v0
	v_addc_co_u32_e32 v12, vcc, v1, v9, vcc
	s_and_saveexec_b64 s[20:21], s[4:5]
	s_cbranch_execz .LBB3_969
; %bb.968:
	v_mov_b32_e32 v13, s16
	v_mov_b32_e32 v14, s17
	;; [unrolled: 1-line block ×4, first 2 shown]
	global_store_dwordx4 v[11:12], v[13:16], off offset:8
.LBB3_969:
	s_or_b64 exec, exec, s[20:21]
	s_lshl_b64 s[16:17], s[18:19], 12
	v_mov_b32_e32 v9, s17
	v_add_co_u32_e32 v2, vcc, s16, v2
	v_addc_co_u32_e32 v3, vcc, v3, v9, vcc
	s_movk_i32 s15, 0xff1d
	v_and_or_b32 v7, v7, s15, 34
	v_ashrrev_i32_e32 v10, 31, v6
	v_mov_b32_e32 v9, v6
	v_readfirstlane_b32 s20, v2
	v_readfirstlane_b32 s21, v3
	s_mov_b32 s16, 0
	s_mov_b32 s17, s16
	;; [unrolled: 1-line block ×4, first 2 shown]
	s_nop 0
	global_store_dwordx4 v50, v[7:10], s[20:21]
	v_mov_b32_e32 v6, s16
	v_mov_b32_e32 v7, s17
	;; [unrolled: 1-line block ×4, first 2 shown]
	global_store_dwordx4 v50, v[6:9], s[20:21] offset:16
	global_store_dwordx4 v50, v[6:9], s[20:21] offset:32
	;; [unrolled: 1-line block ×3, first 2 shown]
	s_and_saveexec_b64 s[16:17], s[4:5]
	s_cbranch_execz .LBB3_977
; %bb.970:
	v_mov_b32_e32 v8, 0
	global_load_dwordx2 v[15:16], v8, s[44:45] offset:32 glc
	global_load_dwordx2 v[2:3], v8, s[44:45] offset:40
	v_mov_b32_e32 v13, s10
	v_mov_b32_e32 v14, s11
	s_waitcnt vmcnt(0)
	v_readfirstlane_b32 s18, v2
	v_readfirstlane_b32 s19, v3
	s_and_b64 s[18:19], s[18:19], s[10:11]
	s_mul_i32 s15, s19, 24
	s_mul_hi_u32 s19, s18, 24
	s_mul_i32 s18, s18, 24
	s_add_i32 s15, s19, s15
	v_mov_b32_e32 v2, s15
	v_add_co_u32_e32 v6, vcc, s18, v0
	v_addc_co_u32_e32 v7, vcc, v1, v2, vcc
	global_store_dwordx2 v[6:7], v[15:16], off
	s_waitcnt vmcnt(0)
	global_atomic_cmpswap_x2 v[2:3], v8, v[13:16], s[44:45] offset:32 glc
	s_waitcnt vmcnt(0)
	v_cmp_ne_u64_e32 vcc, v[2:3], v[15:16]
	s_and_saveexec_b64 s[18:19], vcc
	s_cbranch_execz .LBB3_973
; %bb.971:
	s_mov_b64 s[20:21], 0
.LBB3_972:                              ; =>This Inner Loop Header: Depth=1
	s_sleep 1
	global_store_dwordx2 v[6:7], v[2:3], off
	v_mov_b32_e32 v0, s10
	v_mov_b32_e32 v1, s11
	s_waitcnt vmcnt(0)
	global_atomic_cmpswap_x2 v[0:1], v8, v[0:3], s[44:45] offset:32 glc
	s_waitcnt vmcnt(0)
	v_cmp_eq_u64_e32 vcc, v[0:1], v[2:3]
	v_mov_b32_e32 v3, v1
	s_or_b64 s[20:21], vcc, s[20:21]
	v_mov_b32_e32 v2, v0
	s_andn2_b64 exec, exec, s[20:21]
	s_cbranch_execnz .LBB3_972
.LBB3_973:
	s_or_b64 exec, exec, s[18:19]
	v_mov_b32_e32 v3, 0
	global_load_dwordx2 v[0:1], v3, s[44:45] offset:16
	s_mov_b64 s[18:19], exec
	v_mbcnt_lo_u32_b32 v2, s18, 0
	v_mbcnt_hi_u32_b32 v2, s19, v2
	v_cmp_eq_u32_e32 vcc, 0, v2
	s_and_saveexec_b64 s[20:21], vcc
	s_cbranch_execz .LBB3_975
; %bb.974:
	s_bcnt1_i32_b64 s15, s[18:19]
	v_mov_b32_e32 v2, s15
	s_waitcnt vmcnt(0)
	global_atomic_add_x2 v[0:1], v[2:3], off offset:8
.LBB3_975:
	s_or_b64 exec, exec, s[20:21]
	s_waitcnt vmcnt(0)
	global_load_dwordx2 v[2:3], v[0:1], off offset:16
	s_waitcnt vmcnt(0)
	v_cmp_eq_u64_e32 vcc, 0, v[2:3]
	s_cbranch_vccnz .LBB3_977
; %bb.976:
	global_load_dword v0, v[0:1], off offset:24
	v_mov_b32_e32 v1, 0
	s_waitcnt vmcnt(0)
	global_store_dwordx2 v[2:3], v[0:1], off
	v_and_b32_e32 v0, 0xffffff, v0
	v_readfirstlane_b32 m0, v0
	s_sendmsg sendmsg(MSG_INTERRUPT)
.LBB3_977:
	s_or_b64 exec, exec, s[16:17]
	s_branch .LBB3_981
.LBB3_978:                              ;   in Loop: Header=BB3_981 Depth=1
	s_or_b64 exec, exec, s[16:17]
	v_readfirstlane_b32 s15, v0
	s_cmp_eq_u32 s15, 0
	s_cbranch_scc1 .LBB3_980
; %bb.979:                              ;   in Loop: Header=BB3_981 Depth=1
	s_sleep 1
	s_cbranch_execnz .LBB3_981
	s_branch .LBB3_983
.LBB3_980:
	s_branch .LBB3_983
.LBB3_981:                              ; =>This Inner Loop Header: Depth=1
	v_mov_b32_e32 v0, 1
	s_and_saveexec_b64 s[16:17], s[4:5]
	s_cbranch_execz .LBB3_978
; %bb.982:                              ;   in Loop: Header=BB3_981 Depth=1
	global_load_dword v0, v[11:12], off offset:20 glc
	s_waitcnt vmcnt(0)
	buffer_wbinvl1_vol
	v_and_b32_e32 v0, 1, v0
	s_branch .LBB3_978
.LBB3_983:
	s_and_saveexec_b64 s[16:17], s[4:5]
	s_cbranch_execz .LBB3_986
; %bb.984:
	v_mov_b32_e32 v8, 0
	global_load_dwordx2 v[2:3], v8, s[44:45] offset:40
	global_load_dwordx2 v[9:10], v8, s[44:45] offset:24 glc
	global_load_dwordx2 v[6:7], v8, s[44:45]
	v_mov_b32_e32 v1, s11
	s_mov_b64 s[4:5], 0
	s_waitcnt vmcnt(2)
	v_add_co_u32_e32 v11, vcc, 1, v2
	v_addc_co_u32_e32 v12, vcc, 0, v3, vcc
	v_add_co_u32_e32 v0, vcc, s10, v11
	v_addc_co_u32_e32 v1, vcc, v12, v1, vcc
	v_cmp_eq_u64_e32 vcc, 0, v[0:1]
	v_cndmask_b32_e32 v1, v1, v12, vcc
	v_cndmask_b32_e32 v0, v0, v11, vcc
	v_and_b32_e32 v3, v1, v3
	v_and_b32_e32 v2, v0, v2
	v_mul_lo_u32 v3, v3, 24
	v_mul_hi_u32 v11, v2, 24
	v_mul_lo_u32 v12, v2, 24
	s_waitcnt vmcnt(1)
	v_mov_b32_e32 v2, v9
	v_add_u32_e32 v3, v11, v3
	s_waitcnt vmcnt(0)
	v_add_co_u32_e32 v6, vcc, v6, v12
	v_addc_co_u32_e32 v7, vcc, v7, v3, vcc
	global_store_dwordx2 v[6:7], v[9:10], off
	v_mov_b32_e32 v3, v10
	s_waitcnt vmcnt(0)
	global_atomic_cmpswap_x2 v[2:3], v8, v[0:3], s[44:45] offset:24 glc
	s_waitcnt vmcnt(0)
	v_cmp_ne_u64_e32 vcc, v[2:3], v[9:10]
	s_and_b64 exec, exec, vcc
	s_cbranch_execz .LBB3_986
.LBB3_985:                              ; =>This Inner Loop Header: Depth=1
	s_sleep 1
	global_store_dwordx2 v[6:7], v[2:3], off
	s_waitcnt vmcnt(0)
	global_atomic_cmpswap_x2 v[9:10], v8, v[0:3], s[44:45] offset:24 glc
	s_waitcnt vmcnt(0)
	v_cmp_eq_u64_e32 vcc, v[9:10], v[2:3]
	v_mov_b32_e32 v2, v9
	s_or_b64 s[4:5], vcc, s[4:5]
	v_mov_b32_e32 v3, v10
	s_andn2_b64 exec, exec, s[4:5]
	s_cbranch_execnz .LBB3_985
.LBB3_986:
	s_or_b64 exec, exec, s[16:17]
	v_readfirstlane_b32 s4, v51
	v_mov_b32_e32 v8, 0
	v_mov_b32_e32 v9, 0
	v_cmp_eq_u32_e64 s[4:5], s4, v51
	s_and_saveexec_b64 s[10:11], s[4:5]
	s_cbranch_execz .LBB3_992
; %bb.987:
	v_mov_b32_e32 v0, 0
	global_load_dwordx2 v[10:11], v0, s[44:45] offset:24 glc
	s_waitcnt vmcnt(0)
	buffer_wbinvl1_vol
	global_load_dwordx2 v[1:2], v0, s[44:45] offset:40
	global_load_dwordx2 v[6:7], v0, s[44:45]
	s_waitcnt vmcnt(1)
	v_and_b32_e32 v1, v1, v10
	v_and_b32_e32 v2, v2, v11
	v_mul_lo_u32 v2, v2, 24
	v_mul_hi_u32 v3, v1, 24
	v_mul_lo_u32 v1, v1, 24
	v_add_u32_e32 v2, v3, v2
	s_waitcnt vmcnt(0)
	v_add_co_u32_e32 v1, vcc, v6, v1
	v_addc_co_u32_e32 v2, vcc, v7, v2, vcc
	global_load_dwordx2 v[8:9], v[1:2], off glc
	s_waitcnt vmcnt(0)
	global_atomic_cmpswap_x2 v[8:9], v0, v[8:11], s[44:45] offset:24 glc
	s_waitcnt vmcnt(0)
	buffer_wbinvl1_vol
	v_cmp_ne_u64_e32 vcc, v[8:9], v[10:11]
	s_and_saveexec_b64 s[16:17], vcc
	s_cbranch_execz .LBB3_991
; %bb.988:
	s_mov_b64 s[18:19], 0
.LBB3_989:                              ; =>This Inner Loop Header: Depth=1
	s_sleep 1
	global_load_dwordx2 v[1:2], v0, s[44:45] offset:40
	global_load_dwordx2 v[6:7], v0, s[44:45]
	v_mov_b32_e32 v11, v9
	v_mov_b32_e32 v10, v8
	s_waitcnt vmcnt(1)
	v_and_b32_e32 v1, v1, v10
	s_waitcnt vmcnt(0)
	v_mad_u64_u32 v[6:7], s[20:21], v1, 24, v[6:7]
	v_and_b32_e32 v2, v2, v11
	v_mov_b32_e32 v1, v7
	v_mad_u64_u32 v[1:2], s[20:21], v2, 24, v[1:2]
	v_mov_b32_e32 v7, v1
	global_load_dwordx2 v[8:9], v[6:7], off glc
	s_waitcnt vmcnt(0)
	global_atomic_cmpswap_x2 v[8:9], v0, v[8:11], s[44:45] offset:24 glc
	s_waitcnt vmcnt(0)
	buffer_wbinvl1_vol
	v_cmp_eq_u64_e32 vcc, v[8:9], v[10:11]
	s_or_b64 s[18:19], vcc, s[18:19]
	s_andn2_b64 exec, exec, s[18:19]
	s_cbranch_execnz .LBB3_989
; %bb.990:
	s_or_b64 exec, exec, s[18:19]
.LBB3_991:
	s_or_b64 exec, exec, s[16:17]
.LBB3_992:
	s_or_b64 exec, exec, s[10:11]
	v_mov_b32_e32 v7, 0
	global_load_dwordx2 v[10:11], v7, s[44:45] offset:40
	global_load_dwordx4 v[0:3], v7, s[44:45]
	v_readfirstlane_b32 s10, v8
	v_readfirstlane_b32 s11, v9
	s_mov_b64 s[16:17], exec
	s_waitcnt vmcnt(1)
	v_readfirstlane_b32 s18, v10
	v_readfirstlane_b32 s19, v11
	s_and_b64 s[18:19], s[10:11], s[18:19]
	s_mul_i32 s15, s19, 24
	s_mul_hi_u32 s20, s18, 24
	s_mul_i32 s21, s18, 24
	s_add_i32 s15, s20, s15
	v_mov_b32_e32 v6, s15
	s_waitcnt vmcnt(0)
	v_add_co_u32_e32 v10, vcc, s21, v0
	v_addc_co_u32_e32 v11, vcc, v1, v6, vcc
	s_and_saveexec_b64 s[20:21], s[4:5]
	s_cbranch_execz .LBB3_994
; %bb.993:
	v_mov_b32_e32 v12, s16
	v_mov_b32_e32 v13, s17
	v_mov_b32_e32 v14, 2
	v_mov_b32_e32 v15, 1
	global_store_dwordx4 v[10:11], v[12:15], off offset:8
.LBB3_994:
	s_or_b64 exec, exec, s[20:21]
	s_lshl_b64 s[16:17], s[18:19], 12
	v_mov_b32_e32 v6, s17
	v_add_co_u32_e32 v2, vcc, s16, v2
	v_addc_co_u32_e32 v3, vcc, v3, v6, vcc
	s_mov_b32 s16, 0
	v_mov_b32_e32 v6, 33
	v_mov_b32_e32 v8, v7
	;; [unrolled: 1-line block ×3, first 2 shown]
	v_readfirstlane_b32 s20, v2
	v_readfirstlane_b32 s21, v3
	v_add_co_u32_e32 v12, vcc, v2, v50
	s_mov_b32 s17, s16
	s_mov_b32 s18, s16
	;; [unrolled: 1-line block ×3, first 2 shown]
	s_nop 0
	global_store_dwordx4 v50, v[6:9], s[20:21]
	v_addc_co_u32_e32 v13, vcc, 0, v3, vcc
	v_mov_b32_e32 v6, s16
	v_mov_b32_e32 v7, s17
	;; [unrolled: 1-line block ×4, first 2 shown]
	global_store_dwordx4 v50, v[6:9], s[20:21] offset:16
	global_store_dwordx4 v50, v[6:9], s[20:21] offset:32
	;; [unrolled: 1-line block ×3, first 2 shown]
	s_and_saveexec_b64 s[16:17], s[4:5]
	s_cbranch_execz .LBB3_1002
; %bb.995:
	v_mov_b32_e32 v8, 0
	global_load_dwordx2 v[16:17], v8, s[44:45] offset:32 glc
	global_load_dwordx2 v[2:3], v8, s[44:45] offset:40
	v_mov_b32_e32 v14, s10
	v_mov_b32_e32 v15, s11
	s_waitcnt vmcnt(0)
	v_readfirstlane_b32 s18, v2
	v_readfirstlane_b32 s19, v3
	s_and_b64 s[18:19], s[18:19], s[10:11]
	s_mul_i32 s15, s19, 24
	s_mul_hi_u32 s19, s18, 24
	s_mul_i32 s18, s18, 24
	s_add_i32 s15, s19, s15
	v_mov_b32_e32 v2, s15
	v_add_co_u32_e32 v6, vcc, s18, v0
	v_addc_co_u32_e32 v7, vcc, v1, v2, vcc
	global_store_dwordx2 v[6:7], v[16:17], off
	s_waitcnt vmcnt(0)
	global_atomic_cmpswap_x2 v[2:3], v8, v[14:17], s[44:45] offset:32 glc
	s_waitcnt vmcnt(0)
	v_cmp_ne_u64_e32 vcc, v[2:3], v[16:17]
	s_and_saveexec_b64 s[18:19], vcc
	s_cbranch_execz .LBB3_998
; %bb.996:
	s_mov_b64 s[20:21], 0
.LBB3_997:                              ; =>This Inner Loop Header: Depth=1
	s_sleep 1
	global_store_dwordx2 v[6:7], v[2:3], off
	v_mov_b32_e32 v0, s10
	v_mov_b32_e32 v1, s11
	s_waitcnt vmcnt(0)
	global_atomic_cmpswap_x2 v[0:1], v8, v[0:3], s[44:45] offset:32 glc
	s_waitcnt vmcnt(0)
	v_cmp_eq_u64_e32 vcc, v[0:1], v[2:3]
	v_mov_b32_e32 v3, v1
	s_or_b64 s[20:21], vcc, s[20:21]
	v_mov_b32_e32 v2, v0
	s_andn2_b64 exec, exec, s[20:21]
	s_cbranch_execnz .LBB3_997
.LBB3_998:
	s_or_b64 exec, exec, s[18:19]
	v_mov_b32_e32 v3, 0
	global_load_dwordx2 v[0:1], v3, s[44:45] offset:16
	s_mov_b64 s[18:19], exec
	v_mbcnt_lo_u32_b32 v2, s18, 0
	v_mbcnt_hi_u32_b32 v2, s19, v2
	v_cmp_eq_u32_e32 vcc, 0, v2
	s_and_saveexec_b64 s[20:21], vcc
	s_cbranch_execz .LBB3_1000
; %bb.999:
	s_bcnt1_i32_b64 s15, s[18:19]
	v_mov_b32_e32 v2, s15
	s_waitcnt vmcnt(0)
	global_atomic_add_x2 v[0:1], v[2:3], off offset:8
.LBB3_1000:
	s_or_b64 exec, exec, s[20:21]
	s_waitcnt vmcnt(0)
	global_load_dwordx2 v[2:3], v[0:1], off offset:16
	s_waitcnt vmcnt(0)
	v_cmp_eq_u64_e32 vcc, 0, v[2:3]
	s_cbranch_vccnz .LBB3_1002
; %bb.1001:
	global_load_dword v0, v[0:1], off offset:24
	v_mov_b32_e32 v1, 0
	s_waitcnt vmcnt(0)
	global_store_dwordx2 v[2:3], v[0:1], off
	v_and_b32_e32 v0, 0xffffff, v0
	v_readfirstlane_b32 m0, v0
	s_sendmsg sendmsg(MSG_INTERRUPT)
.LBB3_1002:
	s_or_b64 exec, exec, s[16:17]
	s_branch .LBB3_1006
.LBB3_1003:                             ;   in Loop: Header=BB3_1006 Depth=1
	s_or_b64 exec, exec, s[16:17]
	v_readfirstlane_b32 s15, v0
	s_cmp_eq_u32 s15, 0
	s_cbranch_scc1 .LBB3_1005
; %bb.1004:                             ;   in Loop: Header=BB3_1006 Depth=1
	s_sleep 1
	s_cbranch_execnz .LBB3_1006
	s_branch .LBB3_1008
.LBB3_1005:
	s_branch .LBB3_1008
.LBB3_1006:                             ; =>This Inner Loop Header: Depth=1
	v_mov_b32_e32 v0, 1
	s_and_saveexec_b64 s[16:17], s[4:5]
	s_cbranch_execz .LBB3_1003
; %bb.1007:                             ;   in Loop: Header=BB3_1006 Depth=1
	global_load_dword v0, v[10:11], off offset:20 glc
	s_waitcnt vmcnt(0)
	buffer_wbinvl1_vol
	v_and_b32_e32 v0, 1, v0
	s_branch .LBB3_1003
.LBB3_1008:
	global_load_dwordx2 v[0:1], v[12:13], off
	s_and_saveexec_b64 s[16:17], s[4:5]
	s_cbranch_execz .LBB3_1011
; %bb.1009:
	v_mov_b32_e32 v10, 0
	global_load_dwordx2 v[2:3], v10, s[44:45] offset:40
	global_load_dwordx2 v[11:12], v10, s[44:45] offset:24 glc
	global_load_dwordx2 v[13:14], v10, s[44:45]
	v_mov_b32_e32 v7, s11
	s_mov_b64 s[4:5], 0
	s_waitcnt vmcnt(2)
	v_add_co_u32_e32 v8, vcc, 1, v2
	v_addc_co_u32_e32 v9, vcc, 0, v3, vcc
	v_add_co_u32_e32 v6, vcc, s10, v8
	v_addc_co_u32_e32 v7, vcc, v9, v7, vcc
	v_cmp_eq_u64_e32 vcc, 0, v[6:7]
	v_cndmask_b32_e32 v7, v7, v9, vcc
	v_cndmask_b32_e32 v6, v6, v8, vcc
	v_and_b32_e32 v3, v7, v3
	v_and_b32_e32 v2, v6, v2
	v_mul_lo_u32 v3, v3, 24
	v_mul_hi_u32 v9, v2, 24
	v_mul_lo_u32 v2, v2, 24
	s_waitcnt vmcnt(1)
	v_mov_b32_e32 v8, v11
	v_add_u32_e32 v3, v9, v3
	s_waitcnt vmcnt(0)
	v_add_co_u32_e32 v2, vcc, v13, v2
	v_addc_co_u32_e32 v3, vcc, v14, v3, vcc
	global_store_dwordx2 v[2:3], v[11:12], off
	v_mov_b32_e32 v9, v12
	s_waitcnt vmcnt(0)
	global_atomic_cmpswap_x2 v[8:9], v10, v[6:9], s[44:45] offset:24 glc
	s_waitcnt vmcnt(0)
	v_cmp_ne_u64_e32 vcc, v[8:9], v[11:12]
	s_and_b64 exec, exec, vcc
	s_cbranch_execz .LBB3_1011
.LBB3_1010:                             ; =>This Inner Loop Header: Depth=1
	s_sleep 1
	global_store_dwordx2 v[2:3], v[8:9], off
	s_waitcnt vmcnt(0)
	global_atomic_cmpswap_x2 v[11:12], v10, v[6:9], s[44:45] offset:24 glc
	s_waitcnt vmcnt(0)
	v_cmp_eq_u64_e32 vcc, v[11:12], v[8:9]
	v_mov_b32_e32 v8, v11
	s_or_b64 s[4:5], vcc, s[4:5]
	v_mov_b32_e32 v9, v12
	s_andn2_b64 exec, exec, s[4:5]
	s_cbranch_execnz .LBB3_1010
.LBB3_1011:
	s_or_b64 exec, exec, s[16:17]
	s_and_b64 vcc, exec, s[46:47]
	s_cbranch_vccz .LBB3_1096
; %bb.1012:
	s_waitcnt vmcnt(0)
	v_and_b32_e32 v34, 2, v0
	v_mov_b32_e32 v3, 0
	v_and_b32_e32 v6, -3, v0
	v_mov_b32_e32 v7, v1
	s_mov_b64 s[16:17], 3
	v_mov_b32_e32 v10, 2
	v_mov_b32_e32 v11, 1
	s_getpc_b64 s[10:11]
	s_add_u32 s10, s10, .str.6@rel32@lo+4
	s_addc_u32 s11, s11, .str.6@rel32@hi+12
	s_branch .LBB3_1014
.LBB3_1013:                             ;   in Loop: Header=BB3_1014 Depth=1
	s_or_b64 exec, exec, s[22:23]
	s_sub_u32 s16, s16, s18
	s_subb_u32 s17, s17, s19
	s_add_u32 s10, s10, s18
	s_addc_u32 s11, s11, s19
	s_cmp_lg_u64 s[16:17], 0
	s_cbranch_scc0 .LBB3_1095
.LBB3_1014:                             ; =>This Loop Header: Depth=1
                                        ;     Child Loop BB3_1017 Depth 2
                                        ;     Child Loop BB3_1024 Depth 2
	;; [unrolled: 1-line block ×11, first 2 shown]
	v_cmp_lt_u64_e64 s[4:5], s[16:17], 56
	v_cmp_gt_u64_e64 s[20:21], s[16:17], 7
	s_and_b64 s[4:5], s[4:5], exec
	s_cselect_b32 s19, s17, 0
	s_cselect_b32 s18, s16, 56
	s_and_b64 vcc, exec, s[20:21]
	s_cbranch_vccnz .LBB3_1019
; %bb.1015:                             ;   in Loop: Header=BB3_1014 Depth=1
	v_mov_b32_e32 v14, 0
	s_cmp_eq_u64 s[16:17], 0
	v_mov_b32_e32 v15, 0
	s_mov_b64 s[4:5], 0
	s_cbranch_scc1 .LBB3_1018
; %bb.1016:                             ;   in Loop: Header=BB3_1014 Depth=1
	v_mov_b32_e32 v14, 0
	s_lshl_b64 s[20:21], s[18:19], 3
	s_mov_b64 s[22:23], 0
	v_mov_b32_e32 v15, 0
	s_mov_b64 s[24:25], s[10:11]
.LBB3_1017:                             ;   Parent Loop BB3_1014 Depth=1
                                        ; =>  This Inner Loop Header: Depth=2
	global_load_ubyte v2, v3, s[24:25]
	s_waitcnt vmcnt(0)
	v_and_b32_e32 v2, 0xffff, v2
	v_lshlrev_b64 v[8:9], s22, v[2:3]
	s_add_u32 s22, s22, 8
	s_addc_u32 s23, s23, 0
	s_add_u32 s24, s24, 1
	s_addc_u32 s25, s25, 0
	v_or_b32_e32 v14, v8, v14
	s_cmp_lg_u32 s20, s22
	v_or_b32_e32 v15, v9, v15
	s_cbranch_scc1 .LBB3_1017
.LBB3_1018:                             ;   in Loop: Header=BB3_1014 Depth=1
	s_mov_b32 s15, 0
	s_andn2_b64 vcc, exec, s[4:5]
	s_mov_b64 s[4:5], s[10:11]
	s_cbranch_vccz .LBB3_1020
	s_branch .LBB3_1021
.LBB3_1019:                             ;   in Loop: Header=BB3_1014 Depth=1
                                        ; implicit-def: $vgpr14_vgpr15
                                        ; implicit-def: $sgpr15
	s_mov_b64 s[4:5], s[10:11]
.LBB3_1020:                             ;   in Loop: Header=BB3_1014 Depth=1
	global_load_dwordx2 v[14:15], v3, s[10:11]
	s_add_i32 s15, s18, -8
	s_add_u32 s4, s10, 8
	s_addc_u32 s5, s11, 0
.LBB3_1021:                             ;   in Loop: Header=BB3_1014 Depth=1
	s_cmp_gt_u32 s15, 7
	s_cbranch_scc1 .LBB3_1025
; %bb.1022:                             ;   in Loop: Header=BB3_1014 Depth=1
	s_cmp_eq_u32 s15, 0
	s_cbranch_scc1 .LBB3_1026
; %bb.1023:                             ;   in Loop: Header=BB3_1014 Depth=1
	v_mov_b32_e32 v16, 0
	s_mov_b64 s[20:21], 0
	v_mov_b32_e32 v17, 0
	s_mov_b64 s[22:23], 0
.LBB3_1024:                             ;   Parent Loop BB3_1014 Depth=1
                                        ; =>  This Inner Loop Header: Depth=2
	s_add_u32 s24, s4, s22
	s_addc_u32 s25, s5, s23
	global_load_ubyte v2, v3, s[24:25]
	s_add_u32 s22, s22, 1
	s_addc_u32 s23, s23, 0
	s_waitcnt vmcnt(0)
	v_and_b32_e32 v2, 0xffff, v2
	v_lshlrev_b64 v[8:9], s20, v[2:3]
	s_add_u32 s20, s20, 8
	s_addc_u32 s21, s21, 0
	v_or_b32_e32 v16, v8, v16
	s_cmp_lg_u32 s15, s22
	v_or_b32_e32 v17, v9, v17
	s_cbranch_scc1 .LBB3_1024
	s_branch .LBB3_1027
.LBB3_1025:                             ;   in Loop: Header=BB3_1014 Depth=1
                                        ; implicit-def: $vgpr16_vgpr17
                                        ; implicit-def: $sgpr24
	s_branch .LBB3_1028
.LBB3_1026:                             ;   in Loop: Header=BB3_1014 Depth=1
	v_mov_b32_e32 v16, 0
	v_mov_b32_e32 v17, 0
.LBB3_1027:                             ;   in Loop: Header=BB3_1014 Depth=1
	s_mov_b32 s24, 0
	s_cbranch_execnz .LBB3_1029
.LBB3_1028:                             ;   in Loop: Header=BB3_1014 Depth=1
	global_load_dwordx2 v[16:17], v3, s[4:5]
	s_add_i32 s24, s15, -8
	s_add_u32 s4, s4, 8
	s_addc_u32 s5, s5, 0
.LBB3_1029:                             ;   in Loop: Header=BB3_1014 Depth=1
	s_cmp_gt_u32 s24, 7
	s_cbranch_scc1 .LBB3_1033
; %bb.1030:                             ;   in Loop: Header=BB3_1014 Depth=1
	s_cmp_eq_u32 s24, 0
	s_cbranch_scc1 .LBB3_1034
; %bb.1031:                             ;   in Loop: Header=BB3_1014 Depth=1
	v_mov_b32_e32 v18, 0
	s_mov_b64 s[20:21], 0
	v_mov_b32_e32 v19, 0
	s_mov_b64 s[22:23], 0
.LBB3_1032:                             ;   Parent Loop BB3_1014 Depth=1
                                        ; =>  This Inner Loop Header: Depth=2
	s_add_u32 s26, s4, s22
	s_addc_u32 s27, s5, s23
	global_load_ubyte v2, v3, s[26:27]
	s_add_u32 s22, s22, 1
	s_addc_u32 s23, s23, 0
	s_waitcnt vmcnt(0)
	v_and_b32_e32 v2, 0xffff, v2
	v_lshlrev_b64 v[8:9], s20, v[2:3]
	s_add_u32 s20, s20, 8
	s_addc_u32 s21, s21, 0
	v_or_b32_e32 v18, v8, v18
	s_cmp_lg_u32 s24, s22
	v_or_b32_e32 v19, v9, v19
	s_cbranch_scc1 .LBB3_1032
	s_branch .LBB3_1035
.LBB3_1033:                             ;   in Loop: Header=BB3_1014 Depth=1
                                        ; implicit-def: $sgpr15
	s_branch .LBB3_1036
.LBB3_1034:                             ;   in Loop: Header=BB3_1014 Depth=1
	v_mov_b32_e32 v18, 0
	v_mov_b32_e32 v19, 0
.LBB3_1035:                             ;   in Loop: Header=BB3_1014 Depth=1
	s_mov_b32 s15, 0
	s_cbranch_execnz .LBB3_1037
.LBB3_1036:                             ;   in Loop: Header=BB3_1014 Depth=1
	global_load_dwordx2 v[18:19], v3, s[4:5]
	s_add_i32 s15, s24, -8
	s_add_u32 s4, s4, 8
	s_addc_u32 s5, s5, 0
.LBB3_1037:                             ;   in Loop: Header=BB3_1014 Depth=1
	s_cmp_gt_u32 s15, 7
	s_cbranch_scc1 .LBB3_1041
; %bb.1038:                             ;   in Loop: Header=BB3_1014 Depth=1
	s_cmp_eq_u32 s15, 0
	s_cbranch_scc1 .LBB3_1042
; %bb.1039:                             ;   in Loop: Header=BB3_1014 Depth=1
	v_mov_b32_e32 v20, 0
	s_mov_b64 s[20:21], 0
	v_mov_b32_e32 v21, 0
	s_mov_b64 s[22:23], 0
.LBB3_1040:                             ;   Parent Loop BB3_1014 Depth=1
                                        ; =>  This Inner Loop Header: Depth=2
	s_add_u32 s24, s4, s22
	s_addc_u32 s25, s5, s23
	global_load_ubyte v2, v3, s[24:25]
	s_add_u32 s22, s22, 1
	s_addc_u32 s23, s23, 0
	s_waitcnt vmcnt(0)
	v_and_b32_e32 v2, 0xffff, v2
	v_lshlrev_b64 v[8:9], s20, v[2:3]
	s_add_u32 s20, s20, 8
	s_addc_u32 s21, s21, 0
	v_or_b32_e32 v20, v8, v20
	s_cmp_lg_u32 s15, s22
	v_or_b32_e32 v21, v9, v21
	s_cbranch_scc1 .LBB3_1040
	s_branch .LBB3_1043
.LBB3_1041:                             ;   in Loop: Header=BB3_1014 Depth=1
                                        ; implicit-def: $vgpr20_vgpr21
                                        ; implicit-def: $sgpr24
	s_branch .LBB3_1044
.LBB3_1042:                             ;   in Loop: Header=BB3_1014 Depth=1
	v_mov_b32_e32 v20, 0
	v_mov_b32_e32 v21, 0
.LBB3_1043:                             ;   in Loop: Header=BB3_1014 Depth=1
	s_mov_b32 s24, 0
	s_cbranch_execnz .LBB3_1045
.LBB3_1044:                             ;   in Loop: Header=BB3_1014 Depth=1
	global_load_dwordx2 v[20:21], v3, s[4:5]
	s_add_i32 s24, s15, -8
	s_add_u32 s4, s4, 8
	s_addc_u32 s5, s5, 0
.LBB3_1045:                             ;   in Loop: Header=BB3_1014 Depth=1
	s_cmp_gt_u32 s24, 7
	s_cbranch_scc1 .LBB3_1049
; %bb.1046:                             ;   in Loop: Header=BB3_1014 Depth=1
	s_cmp_eq_u32 s24, 0
	s_cbranch_scc1 .LBB3_1050
; %bb.1047:                             ;   in Loop: Header=BB3_1014 Depth=1
	v_mov_b32_e32 v22, 0
	s_mov_b64 s[20:21], 0
	v_mov_b32_e32 v23, 0
	s_mov_b64 s[22:23], 0
.LBB3_1048:                             ;   Parent Loop BB3_1014 Depth=1
                                        ; =>  This Inner Loop Header: Depth=2
	s_add_u32 s26, s4, s22
	s_addc_u32 s27, s5, s23
	global_load_ubyte v2, v3, s[26:27]
	s_add_u32 s22, s22, 1
	s_addc_u32 s23, s23, 0
	s_waitcnt vmcnt(0)
	v_and_b32_e32 v2, 0xffff, v2
	v_lshlrev_b64 v[8:9], s20, v[2:3]
	s_add_u32 s20, s20, 8
	s_addc_u32 s21, s21, 0
	v_or_b32_e32 v22, v8, v22
	s_cmp_lg_u32 s24, s22
	v_or_b32_e32 v23, v9, v23
	s_cbranch_scc1 .LBB3_1048
	s_branch .LBB3_1051
.LBB3_1049:                             ;   in Loop: Header=BB3_1014 Depth=1
                                        ; implicit-def: $sgpr15
	s_branch .LBB3_1052
.LBB3_1050:                             ;   in Loop: Header=BB3_1014 Depth=1
	v_mov_b32_e32 v22, 0
	v_mov_b32_e32 v23, 0
.LBB3_1051:                             ;   in Loop: Header=BB3_1014 Depth=1
	s_mov_b32 s15, 0
	s_cbranch_execnz .LBB3_1053
.LBB3_1052:                             ;   in Loop: Header=BB3_1014 Depth=1
	global_load_dwordx2 v[22:23], v3, s[4:5]
	s_add_i32 s15, s24, -8
	s_add_u32 s4, s4, 8
	s_addc_u32 s5, s5, 0
.LBB3_1053:                             ;   in Loop: Header=BB3_1014 Depth=1
	s_cmp_gt_u32 s15, 7
	s_cbranch_scc1 .LBB3_1057
; %bb.1054:                             ;   in Loop: Header=BB3_1014 Depth=1
	s_cmp_eq_u32 s15, 0
	s_cbranch_scc1 .LBB3_1058
; %bb.1055:                             ;   in Loop: Header=BB3_1014 Depth=1
	v_mov_b32_e32 v24, 0
	s_mov_b64 s[20:21], 0
	v_mov_b32_e32 v25, 0
	s_mov_b64 s[22:23], 0
.LBB3_1056:                             ;   Parent Loop BB3_1014 Depth=1
                                        ; =>  This Inner Loop Header: Depth=2
	s_add_u32 s24, s4, s22
	s_addc_u32 s25, s5, s23
	global_load_ubyte v2, v3, s[24:25]
	s_add_u32 s22, s22, 1
	s_addc_u32 s23, s23, 0
	s_waitcnt vmcnt(0)
	v_and_b32_e32 v2, 0xffff, v2
	v_lshlrev_b64 v[8:9], s20, v[2:3]
	s_add_u32 s20, s20, 8
	s_addc_u32 s21, s21, 0
	v_or_b32_e32 v24, v8, v24
	s_cmp_lg_u32 s15, s22
	v_or_b32_e32 v25, v9, v25
	s_cbranch_scc1 .LBB3_1056
	s_branch .LBB3_1059
.LBB3_1057:                             ;   in Loop: Header=BB3_1014 Depth=1
                                        ; implicit-def: $vgpr24_vgpr25
                                        ; implicit-def: $sgpr24
	s_branch .LBB3_1060
.LBB3_1058:                             ;   in Loop: Header=BB3_1014 Depth=1
	v_mov_b32_e32 v24, 0
	v_mov_b32_e32 v25, 0
.LBB3_1059:                             ;   in Loop: Header=BB3_1014 Depth=1
	s_mov_b32 s24, 0
	s_cbranch_execnz .LBB3_1061
.LBB3_1060:                             ;   in Loop: Header=BB3_1014 Depth=1
	global_load_dwordx2 v[24:25], v3, s[4:5]
	s_add_i32 s24, s15, -8
	s_add_u32 s4, s4, 8
	s_addc_u32 s5, s5, 0
.LBB3_1061:                             ;   in Loop: Header=BB3_1014 Depth=1
	s_cmp_gt_u32 s24, 7
	s_cbranch_scc1 .LBB3_1065
; %bb.1062:                             ;   in Loop: Header=BB3_1014 Depth=1
	s_cmp_eq_u32 s24, 0
	s_cbranch_scc1 .LBB3_1066
; %bb.1063:                             ;   in Loop: Header=BB3_1014 Depth=1
	v_mov_b32_e32 v26, 0
	s_mov_b64 s[20:21], 0
	v_mov_b32_e32 v27, 0
	s_mov_b64 s[22:23], s[4:5]
.LBB3_1064:                             ;   Parent Loop BB3_1014 Depth=1
                                        ; =>  This Inner Loop Header: Depth=2
	global_load_ubyte v2, v3, s[22:23]
	s_add_i32 s24, s24, -1
	s_waitcnt vmcnt(0)
	v_and_b32_e32 v2, 0xffff, v2
	v_lshlrev_b64 v[8:9], s20, v[2:3]
	s_add_u32 s20, s20, 8
	s_addc_u32 s21, s21, 0
	s_add_u32 s22, s22, 1
	s_addc_u32 s23, s23, 0
	v_or_b32_e32 v26, v8, v26
	s_cmp_lg_u32 s24, 0
	v_or_b32_e32 v27, v9, v27
	s_cbranch_scc1 .LBB3_1064
	s_branch .LBB3_1067
.LBB3_1065:                             ;   in Loop: Header=BB3_1014 Depth=1
	s_branch .LBB3_1068
.LBB3_1066:                             ;   in Loop: Header=BB3_1014 Depth=1
	v_mov_b32_e32 v26, 0
	v_mov_b32_e32 v27, 0
.LBB3_1067:                             ;   in Loop: Header=BB3_1014 Depth=1
	s_cbranch_execnz .LBB3_1069
.LBB3_1068:                             ;   in Loop: Header=BB3_1014 Depth=1
	global_load_dwordx2 v[26:27], v3, s[4:5]
.LBB3_1069:                             ;   in Loop: Header=BB3_1014 Depth=1
	v_readfirstlane_b32 s4, v51
	s_waitcnt vmcnt(0)
	v_mov_b32_e32 v8, 0
	v_mov_b32_e32 v9, 0
	v_cmp_eq_u32_e64 s[4:5], s4, v51
	s_and_saveexec_b64 s[20:21], s[4:5]
	s_cbranch_execz .LBB3_1075
; %bb.1070:                             ;   in Loop: Header=BB3_1014 Depth=1
	global_load_dwordx2 v[30:31], v3, s[44:45] offset:24 glc
	s_waitcnt vmcnt(0)
	buffer_wbinvl1_vol
	global_load_dwordx2 v[8:9], v3, s[44:45] offset:40
	global_load_dwordx2 v[12:13], v3, s[44:45]
	s_waitcnt vmcnt(1)
	v_and_b32_e32 v2, v8, v30
	v_and_b32_e32 v8, v9, v31
	v_mul_lo_u32 v8, v8, 24
	v_mul_hi_u32 v9, v2, 24
	v_mul_lo_u32 v2, v2, 24
	v_add_u32_e32 v9, v9, v8
	s_waitcnt vmcnt(0)
	v_add_co_u32_e32 v8, vcc, v12, v2
	v_addc_co_u32_e32 v9, vcc, v13, v9, vcc
	global_load_dwordx2 v[28:29], v[8:9], off glc
	s_waitcnt vmcnt(0)
	global_atomic_cmpswap_x2 v[8:9], v3, v[28:31], s[44:45] offset:24 glc
	s_waitcnt vmcnt(0)
	buffer_wbinvl1_vol
	v_cmp_ne_u64_e32 vcc, v[8:9], v[30:31]
	s_and_saveexec_b64 s[22:23], vcc
	s_cbranch_execz .LBB3_1074
; %bb.1071:                             ;   in Loop: Header=BB3_1014 Depth=1
	s_mov_b64 s[24:25], 0
.LBB3_1072:                             ;   Parent Loop BB3_1014 Depth=1
                                        ; =>  This Inner Loop Header: Depth=2
	s_sleep 1
	global_load_dwordx2 v[12:13], v3, s[44:45] offset:40
	global_load_dwordx2 v[28:29], v3, s[44:45]
	v_mov_b32_e32 v31, v9
	v_mov_b32_e32 v30, v8
	s_waitcnt vmcnt(1)
	v_and_b32_e32 v2, v12, v30
	s_waitcnt vmcnt(0)
	v_mad_u64_u32 v[8:9], s[26:27], v2, 24, v[28:29]
	v_and_b32_e32 v12, v13, v31
	v_mov_b32_e32 v2, v9
	v_mad_u64_u32 v[12:13], s[26:27], v12, 24, v[2:3]
	v_mov_b32_e32 v9, v12
	global_load_dwordx2 v[28:29], v[8:9], off glc
	s_waitcnt vmcnt(0)
	global_atomic_cmpswap_x2 v[8:9], v3, v[28:31], s[44:45] offset:24 glc
	s_waitcnt vmcnt(0)
	buffer_wbinvl1_vol
	v_cmp_eq_u64_e32 vcc, v[8:9], v[30:31]
	s_or_b64 s[24:25], vcc, s[24:25]
	s_andn2_b64 exec, exec, s[24:25]
	s_cbranch_execnz .LBB3_1072
; %bb.1073:                             ;   in Loop: Header=BB3_1014 Depth=1
	s_or_b64 exec, exec, s[24:25]
.LBB3_1074:                             ;   in Loop: Header=BB3_1014 Depth=1
	s_or_b64 exec, exec, s[22:23]
.LBB3_1075:                             ;   in Loop: Header=BB3_1014 Depth=1
	s_or_b64 exec, exec, s[20:21]
	global_load_dwordx2 v[12:13], v3, s[44:45] offset:40
	global_load_dwordx4 v[28:31], v3, s[44:45]
	v_readfirstlane_b32 s20, v8
	v_readfirstlane_b32 s21, v9
	s_mov_b64 s[22:23], exec
	s_waitcnt vmcnt(1)
	v_readfirstlane_b32 s24, v12
	v_readfirstlane_b32 s25, v13
	s_and_b64 s[24:25], s[20:21], s[24:25]
	s_mul_i32 s15, s25, 24
	s_mul_hi_u32 s26, s24, 24
	s_mul_i32 s27, s24, 24
	s_add_i32 s15, s26, s15
	v_mov_b32_e32 v2, s15
	s_waitcnt vmcnt(0)
	v_add_co_u32_e32 v32, vcc, s27, v28
	v_addc_co_u32_e32 v33, vcc, v29, v2, vcc
	s_and_saveexec_b64 s[26:27], s[4:5]
	s_cbranch_execz .LBB3_1077
; %bb.1076:                             ;   in Loop: Header=BB3_1014 Depth=1
	v_mov_b32_e32 v8, s22
	v_mov_b32_e32 v9, s23
	global_store_dwordx4 v[32:33], v[8:11], off offset:8
.LBB3_1077:                             ;   in Loop: Header=BB3_1014 Depth=1
	s_or_b64 exec, exec, s[26:27]
	s_lshl_b64 s[22:23], s[24:25], 12
	v_mov_b32_e32 v2, s23
	v_add_co_u32_e32 v30, vcc, s22, v30
	v_addc_co_u32_e32 v31, vcc, v31, v2, vcc
	v_cmp_gt_u64_e64 vcc, s[16:17], 56
	v_or_b32_e32 v2, 0, v7
	v_or_b32_e32 v8, v6, v34
	s_lshl_b32 s15, s18, 2
	v_cndmask_b32_e32 v13, v2, v7, vcc
	v_cndmask_b32_e32 v2, v8, v6, vcc
	s_add_i32 s15, s15, 28
	s_and_b32 s15, s15, 0x1e0
	v_and_b32_e32 v2, 0xffffff1f, v2
	v_or_b32_e32 v12, s15, v2
	v_readfirstlane_b32 s22, v30
	v_readfirstlane_b32 s23, v31
	s_nop 4
	global_store_dwordx4 v50, v[12:15], s[22:23]
	global_store_dwordx4 v50, v[16:19], s[22:23] offset:16
	global_store_dwordx4 v50, v[20:23], s[22:23] offset:32
	;; [unrolled: 1-line block ×3, first 2 shown]
	s_and_saveexec_b64 s[22:23], s[4:5]
	s_cbranch_execz .LBB3_1085
; %bb.1078:                             ;   in Loop: Header=BB3_1014 Depth=1
	global_load_dwordx2 v[16:17], v3, s[44:45] offset:32 glc
	global_load_dwordx2 v[6:7], v3, s[44:45] offset:40
	v_mov_b32_e32 v14, s20
	v_mov_b32_e32 v15, s21
	s_waitcnt vmcnt(0)
	v_readfirstlane_b32 s24, v6
	v_readfirstlane_b32 s25, v7
	s_and_b64 s[24:25], s[24:25], s[20:21]
	s_mul_i32 s15, s25, 24
	s_mul_hi_u32 s25, s24, 24
	s_mul_i32 s24, s24, 24
	s_add_i32 s15, s25, s15
	v_mov_b32_e32 v2, s15
	v_add_co_u32_e32 v12, vcc, s24, v28
	v_addc_co_u32_e32 v13, vcc, v29, v2, vcc
	global_store_dwordx2 v[12:13], v[16:17], off
	s_waitcnt vmcnt(0)
	global_atomic_cmpswap_x2 v[8:9], v3, v[14:17], s[44:45] offset:32 glc
	s_waitcnt vmcnt(0)
	v_cmp_ne_u64_e32 vcc, v[8:9], v[16:17]
	s_and_saveexec_b64 s[24:25], vcc
	s_cbranch_execz .LBB3_1081
; %bb.1079:                             ;   in Loop: Header=BB3_1014 Depth=1
	s_mov_b64 s[26:27], 0
.LBB3_1080:                             ;   Parent Loop BB3_1014 Depth=1
                                        ; =>  This Inner Loop Header: Depth=2
	s_sleep 1
	global_store_dwordx2 v[12:13], v[8:9], off
	v_mov_b32_e32 v6, s20
	v_mov_b32_e32 v7, s21
	s_waitcnt vmcnt(0)
	global_atomic_cmpswap_x2 v[6:7], v3, v[6:9], s[44:45] offset:32 glc
	s_waitcnt vmcnt(0)
	v_cmp_eq_u64_e32 vcc, v[6:7], v[8:9]
	v_mov_b32_e32 v9, v7
	s_or_b64 s[26:27], vcc, s[26:27]
	v_mov_b32_e32 v8, v6
	s_andn2_b64 exec, exec, s[26:27]
	s_cbranch_execnz .LBB3_1080
.LBB3_1081:                             ;   in Loop: Header=BB3_1014 Depth=1
	s_or_b64 exec, exec, s[24:25]
	global_load_dwordx2 v[6:7], v3, s[44:45] offset:16
	s_mov_b64 s[26:27], exec
	v_mbcnt_lo_u32_b32 v2, s26, 0
	v_mbcnt_hi_u32_b32 v2, s27, v2
	v_cmp_eq_u32_e32 vcc, 0, v2
	s_and_saveexec_b64 s[24:25], vcc
	s_cbranch_execz .LBB3_1083
; %bb.1082:                             ;   in Loop: Header=BB3_1014 Depth=1
	s_bcnt1_i32_b64 s15, s[26:27]
	v_mov_b32_e32 v2, s15
	s_waitcnt vmcnt(0)
	global_atomic_add_x2 v[6:7], v[2:3], off offset:8
.LBB3_1083:                             ;   in Loop: Header=BB3_1014 Depth=1
	s_or_b64 exec, exec, s[24:25]
	s_waitcnt vmcnt(0)
	global_load_dwordx2 v[8:9], v[6:7], off offset:16
	s_waitcnt vmcnt(0)
	v_cmp_eq_u64_e32 vcc, 0, v[8:9]
	s_cbranch_vccnz .LBB3_1085
; %bb.1084:                             ;   in Loop: Header=BB3_1014 Depth=1
	global_load_dword v2, v[6:7], off offset:24
	s_waitcnt vmcnt(0)
	global_store_dwordx2 v[8:9], v[2:3], off
	v_and_b32_e32 v2, 0xffffff, v2
	v_readfirstlane_b32 m0, v2
	s_sendmsg sendmsg(MSG_INTERRUPT)
.LBB3_1085:                             ;   in Loop: Header=BB3_1014 Depth=1
	s_or_b64 exec, exec, s[22:23]
	v_add_co_u32_e32 v6, vcc, v30, v50
	v_addc_co_u32_e32 v7, vcc, 0, v31, vcc
	s_branch .LBB3_1089
.LBB3_1086:                             ;   in Loop: Header=BB3_1089 Depth=2
	s_or_b64 exec, exec, s[22:23]
	v_readfirstlane_b32 s15, v2
	s_cmp_eq_u32 s15, 0
	s_cbranch_scc1 .LBB3_1088
; %bb.1087:                             ;   in Loop: Header=BB3_1089 Depth=2
	s_sleep 1
	s_cbranch_execnz .LBB3_1089
	s_branch .LBB3_1091
.LBB3_1088:                             ;   in Loop: Header=BB3_1014 Depth=1
	s_branch .LBB3_1091
.LBB3_1089:                             ;   Parent Loop BB3_1014 Depth=1
                                        ; =>  This Inner Loop Header: Depth=2
	v_mov_b32_e32 v2, 1
	s_and_saveexec_b64 s[22:23], s[4:5]
	s_cbranch_execz .LBB3_1086
; %bb.1090:                             ;   in Loop: Header=BB3_1089 Depth=2
	global_load_dword v2, v[32:33], off offset:20 glc
	s_waitcnt vmcnt(0)
	buffer_wbinvl1_vol
	v_and_b32_e32 v2, 1, v2
	s_branch .LBB3_1086
.LBB3_1091:                             ;   in Loop: Header=BB3_1014 Depth=1
	global_load_dwordx4 v[6:9], v[6:7], off
	s_and_saveexec_b64 s[22:23], s[4:5]
	s_cbranch_execz .LBB3_1013
; %bb.1092:                             ;   in Loop: Header=BB3_1014 Depth=1
	global_load_dwordx2 v[8:9], v3, s[44:45] offset:40
	global_load_dwordx2 v[16:17], v3, s[44:45] offset:24 glc
	global_load_dwordx2 v[18:19], v3, s[44:45]
	v_mov_b32_e32 v2, s21
	s_waitcnt vmcnt(2)
	v_add_co_u32_e32 v14, vcc, 1, v8
	v_addc_co_u32_e32 v15, vcc, 0, v9, vcc
	v_add_co_u32_e32 v12, vcc, s20, v14
	v_addc_co_u32_e32 v13, vcc, v15, v2, vcc
	v_cmp_eq_u64_e32 vcc, 0, v[12:13]
	v_cndmask_b32_e32 v13, v13, v15, vcc
	v_cndmask_b32_e32 v12, v12, v14, vcc
	v_and_b32_e32 v2, v13, v9
	v_and_b32_e32 v8, v12, v8
	v_mul_lo_u32 v2, v2, 24
	v_mul_hi_u32 v9, v8, 24
	v_mul_lo_u32 v8, v8, 24
	s_waitcnt vmcnt(1)
	v_mov_b32_e32 v14, v16
	v_mov_b32_e32 v15, v17
	v_add_u32_e32 v2, v9, v2
	s_waitcnt vmcnt(0)
	v_add_co_u32_e32 v8, vcc, v18, v8
	v_addc_co_u32_e32 v9, vcc, v19, v2, vcc
	global_store_dwordx2 v[8:9], v[16:17], off
	s_waitcnt vmcnt(0)
	global_atomic_cmpswap_x2 v[14:15], v3, v[12:15], s[44:45] offset:24 glc
	s_waitcnt vmcnt(0)
	v_cmp_ne_u64_e32 vcc, v[14:15], v[16:17]
	s_and_b64 exec, exec, vcc
	s_cbranch_execz .LBB3_1013
; %bb.1093:                             ;   in Loop: Header=BB3_1014 Depth=1
	s_mov_b64 s[4:5], 0
.LBB3_1094:                             ;   Parent Loop BB3_1014 Depth=1
                                        ; =>  This Inner Loop Header: Depth=2
	s_sleep 1
	global_store_dwordx2 v[8:9], v[14:15], off
	s_waitcnt vmcnt(0)
	global_atomic_cmpswap_x2 v[16:17], v3, v[12:15], s[44:45] offset:24 glc
	s_waitcnt vmcnt(0)
	v_cmp_eq_u64_e32 vcc, v[16:17], v[14:15]
	v_mov_b32_e32 v14, v16
	s_or_b64 s[4:5], vcc, s[4:5]
	v_mov_b32_e32 v15, v17
	s_andn2_b64 exec, exec, s[4:5]
	s_cbranch_execnz .LBB3_1094
	s_branch .LBB3_1013
.LBB3_1095:
	s_branch .LBB3_1123
.LBB3_1096:
                                        ; implicit-def: $vgpr6_vgpr7
	s_cbranch_execz .LBB3_1123
; %bb.1097:
	v_readfirstlane_b32 s4, v51
	v_mov_b32_e32 v10, 0
	v_mov_b32_e32 v11, 0
	v_cmp_eq_u32_e64 s[4:5], s4, v51
	s_and_saveexec_b64 s[10:11], s[4:5]
	s_cbranch_execz .LBB3_1103
; %bb.1098:
	v_mov_b32_e32 v2, 0
	global_load_dwordx2 v[8:9], v2, s[44:45] offset:24 glc
	s_waitcnt vmcnt(0)
	buffer_wbinvl1_vol
	global_load_dwordx2 v[6:7], v2, s[44:45] offset:40
	global_load_dwordx2 v[10:11], v2, s[44:45]
	s_waitcnt vmcnt(1)
	v_and_b32_e32 v3, v6, v8
	v_and_b32_e32 v6, v7, v9
	v_mul_lo_u32 v6, v6, 24
	v_mul_hi_u32 v7, v3, 24
	v_mul_lo_u32 v3, v3, 24
	v_add_u32_e32 v7, v7, v6
	s_waitcnt vmcnt(0)
	v_add_co_u32_e32 v6, vcc, v10, v3
	v_addc_co_u32_e32 v7, vcc, v11, v7, vcc
	global_load_dwordx2 v[6:7], v[6:7], off glc
	s_waitcnt vmcnt(0)
	global_atomic_cmpswap_x2 v[10:11], v2, v[6:9], s[44:45] offset:24 glc
	s_waitcnt vmcnt(0)
	buffer_wbinvl1_vol
	v_cmp_ne_u64_e32 vcc, v[10:11], v[8:9]
	s_and_saveexec_b64 s[16:17], vcc
	s_cbranch_execz .LBB3_1102
; %bb.1099:
	s_mov_b64 s[18:19], 0
.LBB3_1100:                             ; =>This Inner Loop Header: Depth=1
	s_sleep 1
	global_load_dwordx2 v[6:7], v2, s[44:45] offset:40
	global_load_dwordx2 v[12:13], v2, s[44:45]
	v_mov_b32_e32 v8, v10
	v_mov_b32_e32 v9, v11
	s_waitcnt vmcnt(1)
	v_and_b32_e32 v3, v6, v8
	s_waitcnt vmcnt(0)
	v_mad_u64_u32 v[10:11], s[20:21], v3, 24, v[12:13]
	v_and_b32_e32 v6, v7, v9
	v_mov_b32_e32 v3, v11
	v_mad_u64_u32 v[6:7], s[20:21], v6, 24, v[3:4]
	v_mov_b32_e32 v11, v6
	global_load_dwordx2 v[6:7], v[10:11], off glc
	s_waitcnt vmcnt(0)
	global_atomic_cmpswap_x2 v[10:11], v2, v[6:9], s[44:45] offset:24 glc
	s_waitcnt vmcnt(0)
	buffer_wbinvl1_vol
	v_cmp_eq_u64_e32 vcc, v[10:11], v[8:9]
	s_or_b64 s[18:19], vcc, s[18:19]
	s_andn2_b64 exec, exec, s[18:19]
	s_cbranch_execnz .LBB3_1100
; %bb.1101:
	s_or_b64 exec, exec, s[18:19]
.LBB3_1102:
	s_or_b64 exec, exec, s[16:17]
.LBB3_1103:
	s_or_b64 exec, exec, s[10:11]
	v_mov_b32_e32 v2, 0
	global_load_dwordx2 v[12:13], v2, s[44:45] offset:40
	global_load_dwordx4 v[6:9], v2, s[44:45]
	v_readfirstlane_b32 s10, v10
	v_readfirstlane_b32 s11, v11
	s_mov_b64 s[16:17], exec
	s_waitcnt vmcnt(1)
	v_readfirstlane_b32 s18, v12
	v_readfirstlane_b32 s19, v13
	s_and_b64 s[18:19], s[10:11], s[18:19]
	s_mul_i32 s15, s19, 24
	s_mul_hi_u32 s20, s18, 24
	s_mul_i32 s21, s18, 24
	s_add_i32 s15, s20, s15
	v_mov_b32_e32 v3, s15
	s_waitcnt vmcnt(0)
	v_add_co_u32_e32 v10, vcc, s21, v6
	v_addc_co_u32_e32 v11, vcc, v7, v3, vcc
	s_and_saveexec_b64 s[20:21], s[4:5]
	s_cbranch_execz .LBB3_1105
; %bb.1104:
	v_mov_b32_e32 v12, s16
	v_mov_b32_e32 v13, s17
	;; [unrolled: 1-line block ×4, first 2 shown]
	global_store_dwordx4 v[10:11], v[12:15], off offset:8
.LBB3_1105:
	s_or_b64 exec, exec, s[20:21]
	s_lshl_b64 s[16:17], s[18:19], 12
	v_mov_b32_e32 v3, s17
	v_add_co_u32_e32 v12, vcc, s16, v8
	v_addc_co_u32_e32 v13, vcc, v9, v3, vcc
	s_movk_i32 s15, 0xff1f
	v_and_or_b32 v0, v0, s15, 32
	s_mov_b32 s16, 0
	v_mov_b32_e32 v3, v2
	v_readfirstlane_b32 s20, v12
	v_readfirstlane_b32 s21, v13
	v_add_co_u32_e32 v8, vcc, v12, v50
	s_mov_b32 s17, s16
	s_mov_b32 s18, s16
	;; [unrolled: 1-line block ×3, first 2 shown]
	s_nop 0
	global_store_dwordx4 v50, v[0:3], s[20:21]
	v_addc_co_u32_e32 v9, vcc, 0, v13, vcc
	v_mov_b32_e32 v0, s16
	v_mov_b32_e32 v1, s17
	;; [unrolled: 1-line block ×4, first 2 shown]
	global_store_dwordx4 v50, v[0:3], s[20:21] offset:16
	global_store_dwordx4 v50, v[0:3], s[20:21] offset:32
	;; [unrolled: 1-line block ×3, first 2 shown]
	s_and_saveexec_b64 s[16:17], s[4:5]
	s_cbranch_execz .LBB3_1113
; %bb.1106:
	v_mov_b32_e32 v12, 0
	global_load_dwordx2 v[15:16], v12, s[44:45] offset:32 glc
	global_load_dwordx2 v[0:1], v12, s[44:45] offset:40
	v_mov_b32_e32 v13, s10
	v_mov_b32_e32 v14, s11
	s_waitcnt vmcnt(0)
	v_readfirstlane_b32 s18, v0
	v_readfirstlane_b32 s19, v1
	s_and_b64 s[18:19], s[18:19], s[10:11]
	s_mul_i32 s15, s19, 24
	s_mul_hi_u32 s19, s18, 24
	s_mul_i32 s18, s18, 24
	s_add_i32 s15, s19, s15
	v_mov_b32_e32 v0, s15
	v_add_co_u32_e32 v6, vcc, s18, v6
	v_addc_co_u32_e32 v7, vcc, v7, v0, vcc
	global_store_dwordx2 v[6:7], v[15:16], off
	s_waitcnt vmcnt(0)
	global_atomic_cmpswap_x2 v[2:3], v12, v[13:16], s[44:45] offset:32 glc
	s_waitcnt vmcnt(0)
	v_cmp_ne_u64_e32 vcc, v[2:3], v[15:16]
	s_and_saveexec_b64 s[18:19], vcc
	s_cbranch_execz .LBB3_1109
; %bb.1107:
	s_mov_b64 s[20:21], 0
.LBB3_1108:                             ; =>This Inner Loop Header: Depth=1
	s_sleep 1
	global_store_dwordx2 v[6:7], v[2:3], off
	v_mov_b32_e32 v0, s10
	v_mov_b32_e32 v1, s11
	s_waitcnt vmcnt(0)
	global_atomic_cmpswap_x2 v[0:1], v12, v[0:3], s[44:45] offset:32 glc
	s_waitcnt vmcnt(0)
	v_cmp_eq_u64_e32 vcc, v[0:1], v[2:3]
	v_mov_b32_e32 v3, v1
	s_or_b64 s[20:21], vcc, s[20:21]
	v_mov_b32_e32 v2, v0
	s_andn2_b64 exec, exec, s[20:21]
	s_cbranch_execnz .LBB3_1108
.LBB3_1109:
	s_or_b64 exec, exec, s[18:19]
	v_mov_b32_e32 v3, 0
	global_load_dwordx2 v[0:1], v3, s[44:45] offset:16
	s_mov_b64 s[18:19], exec
	v_mbcnt_lo_u32_b32 v2, s18, 0
	v_mbcnt_hi_u32_b32 v2, s19, v2
	v_cmp_eq_u32_e32 vcc, 0, v2
	s_and_saveexec_b64 s[20:21], vcc
	s_cbranch_execz .LBB3_1111
; %bb.1110:
	s_bcnt1_i32_b64 s15, s[18:19]
	v_mov_b32_e32 v2, s15
	s_waitcnt vmcnt(0)
	global_atomic_add_x2 v[0:1], v[2:3], off offset:8
.LBB3_1111:
	s_or_b64 exec, exec, s[20:21]
	s_waitcnt vmcnt(0)
	global_load_dwordx2 v[2:3], v[0:1], off offset:16
	s_waitcnt vmcnt(0)
	v_cmp_eq_u64_e32 vcc, 0, v[2:3]
	s_cbranch_vccnz .LBB3_1113
; %bb.1112:
	global_load_dword v0, v[0:1], off offset:24
	v_mov_b32_e32 v1, 0
	s_waitcnt vmcnt(0)
	global_store_dwordx2 v[2:3], v[0:1], off
	v_and_b32_e32 v0, 0xffffff, v0
	v_readfirstlane_b32 m0, v0
	s_sendmsg sendmsg(MSG_INTERRUPT)
.LBB3_1113:
	s_or_b64 exec, exec, s[16:17]
	s_branch .LBB3_1117
.LBB3_1114:                             ;   in Loop: Header=BB3_1117 Depth=1
	s_or_b64 exec, exec, s[16:17]
	v_readfirstlane_b32 s15, v0
	s_cmp_eq_u32 s15, 0
	s_cbranch_scc1 .LBB3_1116
; %bb.1115:                             ;   in Loop: Header=BB3_1117 Depth=1
	s_sleep 1
	s_cbranch_execnz .LBB3_1117
	s_branch .LBB3_1119
.LBB3_1116:
	s_branch .LBB3_1119
.LBB3_1117:                             ; =>This Inner Loop Header: Depth=1
	v_mov_b32_e32 v0, 1
	s_and_saveexec_b64 s[16:17], s[4:5]
	s_cbranch_execz .LBB3_1114
; %bb.1118:                             ;   in Loop: Header=BB3_1117 Depth=1
	global_load_dword v0, v[10:11], off offset:20 glc
	s_waitcnt vmcnt(0)
	buffer_wbinvl1_vol
	v_and_b32_e32 v0, 1, v0
	s_branch .LBB3_1114
.LBB3_1119:
	global_load_dwordx2 v[6:7], v[8:9], off
	s_and_saveexec_b64 s[16:17], s[4:5]
	s_cbranch_execz .LBB3_1122
; %bb.1120:
	v_mov_b32_e32 v10, 0
	global_load_dwordx2 v[2:3], v10, s[44:45] offset:40
	global_load_dwordx2 v[11:12], v10, s[44:45] offset:24 glc
	global_load_dwordx2 v[8:9], v10, s[44:45]
	v_mov_b32_e32 v1, s11
	s_mov_b64 s[4:5], 0
	s_waitcnt vmcnt(2)
	v_add_co_u32_e32 v13, vcc, 1, v2
	v_addc_co_u32_e32 v14, vcc, 0, v3, vcc
	v_add_co_u32_e32 v0, vcc, s10, v13
	v_addc_co_u32_e32 v1, vcc, v14, v1, vcc
	v_cmp_eq_u64_e32 vcc, 0, v[0:1]
	v_cndmask_b32_e32 v1, v1, v14, vcc
	v_cndmask_b32_e32 v0, v0, v13, vcc
	v_and_b32_e32 v3, v1, v3
	v_and_b32_e32 v2, v0, v2
	v_mul_lo_u32 v3, v3, 24
	v_mul_hi_u32 v13, v2, 24
	v_mul_lo_u32 v14, v2, 24
	s_waitcnt vmcnt(1)
	v_mov_b32_e32 v2, v11
	v_add_u32_e32 v3, v13, v3
	s_waitcnt vmcnt(0)
	v_add_co_u32_e32 v8, vcc, v8, v14
	v_addc_co_u32_e32 v9, vcc, v9, v3, vcc
	global_store_dwordx2 v[8:9], v[11:12], off
	v_mov_b32_e32 v3, v12
	s_waitcnt vmcnt(0)
	global_atomic_cmpswap_x2 v[2:3], v10, v[0:3], s[44:45] offset:24 glc
	s_waitcnt vmcnt(0)
	v_cmp_ne_u64_e32 vcc, v[2:3], v[11:12]
	s_and_b64 exec, exec, vcc
	s_cbranch_execz .LBB3_1122
.LBB3_1121:                             ; =>This Inner Loop Header: Depth=1
	s_sleep 1
	global_store_dwordx2 v[8:9], v[2:3], off
	s_waitcnt vmcnt(0)
	global_atomic_cmpswap_x2 v[11:12], v10, v[0:3], s[44:45] offset:24 glc
	s_waitcnt vmcnt(0)
	v_cmp_eq_u64_e32 vcc, v[11:12], v[2:3]
	v_mov_b32_e32 v2, v11
	s_or_b64 s[4:5], vcc, s[4:5]
	v_mov_b32_e32 v3, v12
	s_andn2_b64 exec, exec, s[4:5]
	s_cbranch_execnz .LBB3_1121
.LBB3_1122:
	s_or_b64 exec, exec, s[16:17]
.LBB3_1123:
	v_readfirstlane_b32 s4, v51
	v_mov_b32_e32 v10, 0
	v_mov_b32_e32 v11, 0
	v_cmp_eq_u32_e64 s[4:5], s4, v51
	s_and_saveexec_b64 s[10:11], s[4:5]
	s_cbranch_execz .LBB3_1129
; %bb.1124:
	s_waitcnt vmcnt(0)
	v_mov_b32_e32 v0, 0
	global_load_dwordx2 v[12:13], v0, s[44:45] offset:24 glc
	s_waitcnt vmcnt(0)
	buffer_wbinvl1_vol
	global_load_dwordx2 v[1:2], v0, s[44:45] offset:40
	global_load_dwordx2 v[8:9], v0, s[44:45]
	s_waitcnt vmcnt(1)
	v_and_b32_e32 v1, v1, v12
	v_and_b32_e32 v2, v2, v13
	v_mul_lo_u32 v2, v2, 24
	v_mul_hi_u32 v3, v1, 24
	v_mul_lo_u32 v1, v1, 24
	v_add_u32_e32 v2, v3, v2
	s_waitcnt vmcnt(0)
	v_add_co_u32_e32 v1, vcc, v8, v1
	v_addc_co_u32_e32 v2, vcc, v9, v2, vcc
	global_load_dwordx2 v[10:11], v[1:2], off glc
	s_waitcnt vmcnt(0)
	global_atomic_cmpswap_x2 v[10:11], v0, v[10:13], s[44:45] offset:24 glc
	s_waitcnt vmcnt(0)
	buffer_wbinvl1_vol
	v_cmp_ne_u64_e32 vcc, v[10:11], v[12:13]
	s_and_saveexec_b64 s[16:17], vcc
	s_cbranch_execz .LBB3_1128
; %bb.1125:
	s_mov_b64 s[18:19], 0
.LBB3_1126:                             ; =>This Inner Loop Header: Depth=1
	s_sleep 1
	global_load_dwordx2 v[1:2], v0, s[44:45] offset:40
	global_load_dwordx2 v[8:9], v0, s[44:45]
	v_mov_b32_e32 v13, v11
	v_mov_b32_e32 v12, v10
	s_waitcnt vmcnt(1)
	v_and_b32_e32 v1, v1, v12
	s_waitcnt vmcnt(0)
	v_mad_u64_u32 v[8:9], s[20:21], v1, 24, v[8:9]
	v_and_b32_e32 v2, v2, v13
	v_mov_b32_e32 v1, v9
	v_mad_u64_u32 v[1:2], s[20:21], v2, 24, v[1:2]
	v_mov_b32_e32 v9, v1
	global_load_dwordx2 v[10:11], v[8:9], off glc
	s_waitcnt vmcnt(0)
	global_atomic_cmpswap_x2 v[10:11], v0, v[10:13], s[44:45] offset:24 glc
	s_waitcnt vmcnt(0)
	buffer_wbinvl1_vol
	v_cmp_eq_u64_e32 vcc, v[10:11], v[12:13]
	s_or_b64 s[18:19], vcc, s[18:19]
	s_andn2_b64 exec, exec, s[18:19]
	s_cbranch_execnz .LBB3_1126
; %bb.1127:
	s_or_b64 exec, exec, s[18:19]
.LBB3_1128:
	s_or_b64 exec, exec, s[16:17]
.LBB3_1129:
	s_or_b64 exec, exec, s[10:11]
	s_waitcnt vmcnt(0)
	v_mov_b32_e32 v9, 0
	global_load_dwordx2 v[12:13], v9, s[44:45] offset:40
	global_load_dwordx4 v[0:3], v9, s[44:45]
	v_readfirstlane_b32 s10, v10
	v_readfirstlane_b32 s11, v11
	s_mov_b64 s[16:17], exec
	s_waitcnt vmcnt(1)
	v_readfirstlane_b32 s18, v12
	v_readfirstlane_b32 s19, v13
	s_and_b64 s[18:19], s[10:11], s[18:19]
	s_mul_i32 s15, s19, 24
	s_mul_hi_u32 s20, s18, 24
	s_mul_i32 s21, s18, 24
	s_add_i32 s15, s20, s15
	v_mov_b32_e32 v8, s15
	s_waitcnt vmcnt(0)
	v_add_co_u32_e32 v10, vcc, s21, v0
	v_addc_co_u32_e32 v11, vcc, v1, v8, vcc
	s_and_saveexec_b64 s[20:21], s[4:5]
	s_cbranch_execz .LBB3_1131
; %bb.1130:
	v_mov_b32_e32 v12, s16
	v_mov_b32_e32 v13, s17
	;; [unrolled: 1-line block ×4, first 2 shown]
	global_store_dwordx4 v[10:11], v[12:15], off offset:8
.LBB3_1131:
	s_or_b64 exec, exec, s[20:21]
	s_lshl_b64 s[16:17], s[18:19], 12
	v_mov_b32_e32 v8, s17
	v_add_co_u32_e32 v2, vcc, s16, v2
	v_addc_co_u32_e32 v3, vcc, v3, v8, vcc
	s_movk_i32 s15, 0xff1d
	v_and_or_b32 v6, v6, s15, 34
	s_mov_b32 s16, 0
	v_mov_b32_e32 v8, 58
	v_readfirstlane_b32 s20, v2
	v_readfirstlane_b32 s21, v3
	s_mov_b32 s17, s16
	s_mov_b32 s18, s16
	s_mov_b32 s19, s16
	s_nop 1
	global_store_dwordx4 v50, v[6:9], s[20:21]
	s_nop 0
	v_mov_b32_e32 v6, s16
	v_mov_b32_e32 v7, s17
	;; [unrolled: 1-line block ×4, first 2 shown]
	global_store_dwordx4 v50, v[6:9], s[20:21] offset:16
	global_store_dwordx4 v50, v[6:9], s[20:21] offset:32
	;; [unrolled: 1-line block ×3, first 2 shown]
	s_and_saveexec_b64 s[16:17], s[4:5]
	s_cbranch_execz .LBB3_1139
; %bb.1132:
	v_mov_b32_e32 v8, 0
	global_load_dwordx2 v[14:15], v8, s[44:45] offset:32 glc
	global_load_dwordx2 v[2:3], v8, s[44:45] offset:40
	v_mov_b32_e32 v12, s10
	v_mov_b32_e32 v13, s11
	s_waitcnt vmcnt(0)
	v_readfirstlane_b32 s18, v2
	v_readfirstlane_b32 s19, v3
	s_and_b64 s[18:19], s[18:19], s[10:11]
	s_mul_i32 s15, s19, 24
	s_mul_hi_u32 s19, s18, 24
	s_mul_i32 s18, s18, 24
	s_add_i32 s15, s19, s15
	v_mov_b32_e32 v2, s15
	v_add_co_u32_e32 v6, vcc, s18, v0
	v_addc_co_u32_e32 v7, vcc, v1, v2, vcc
	global_store_dwordx2 v[6:7], v[14:15], off
	s_waitcnt vmcnt(0)
	global_atomic_cmpswap_x2 v[2:3], v8, v[12:15], s[44:45] offset:32 glc
	s_waitcnt vmcnt(0)
	v_cmp_ne_u64_e32 vcc, v[2:3], v[14:15]
	s_and_saveexec_b64 s[18:19], vcc
	s_cbranch_execz .LBB3_1135
; %bb.1133:
	s_mov_b64 s[20:21], 0
.LBB3_1134:                             ; =>This Inner Loop Header: Depth=1
	s_sleep 1
	global_store_dwordx2 v[6:7], v[2:3], off
	v_mov_b32_e32 v0, s10
	v_mov_b32_e32 v1, s11
	s_waitcnt vmcnt(0)
	global_atomic_cmpswap_x2 v[0:1], v8, v[0:3], s[44:45] offset:32 glc
	s_waitcnt vmcnt(0)
	v_cmp_eq_u64_e32 vcc, v[0:1], v[2:3]
	v_mov_b32_e32 v3, v1
	s_or_b64 s[20:21], vcc, s[20:21]
	v_mov_b32_e32 v2, v0
	s_andn2_b64 exec, exec, s[20:21]
	s_cbranch_execnz .LBB3_1134
.LBB3_1135:
	s_or_b64 exec, exec, s[18:19]
	v_mov_b32_e32 v3, 0
	global_load_dwordx2 v[0:1], v3, s[44:45] offset:16
	s_mov_b64 s[18:19], exec
	v_mbcnt_lo_u32_b32 v2, s18, 0
	v_mbcnt_hi_u32_b32 v2, s19, v2
	v_cmp_eq_u32_e32 vcc, 0, v2
	s_and_saveexec_b64 s[20:21], vcc
	s_cbranch_execz .LBB3_1137
; %bb.1136:
	s_bcnt1_i32_b64 s15, s[18:19]
	v_mov_b32_e32 v2, s15
	s_waitcnt vmcnt(0)
	global_atomic_add_x2 v[0:1], v[2:3], off offset:8
.LBB3_1137:
	s_or_b64 exec, exec, s[20:21]
	s_waitcnt vmcnt(0)
	global_load_dwordx2 v[2:3], v[0:1], off offset:16
	s_waitcnt vmcnt(0)
	v_cmp_eq_u64_e32 vcc, 0, v[2:3]
	s_cbranch_vccnz .LBB3_1139
; %bb.1138:
	global_load_dword v0, v[0:1], off offset:24
	v_mov_b32_e32 v1, 0
	s_waitcnt vmcnt(0)
	global_store_dwordx2 v[2:3], v[0:1], off
	v_and_b32_e32 v0, 0xffffff, v0
	v_readfirstlane_b32 m0, v0
	s_sendmsg sendmsg(MSG_INTERRUPT)
.LBB3_1139:
	s_or_b64 exec, exec, s[16:17]
	s_branch .LBB3_1143
.LBB3_1140:                             ;   in Loop: Header=BB3_1143 Depth=1
	s_or_b64 exec, exec, s[16:17]
	v_readfirstlane_b32 s15, v0
	s_cmp_eq_u32 s15, 0
	s_cbranch_scc1 .LBB3_1142
; %bb.1141:                             ;   in Loop: Header=BB3_1143 Depth=1
	s_sleep 1
	s_cbranch_execnz .LBB3_1143
	s_branch .LBB3_1145
.LBB3_1142:
	s_branch .LBB3_1145
.LBB3_1143:                             ; =>This Inner Loop Header: Depth=1
	v_mov_b32_e32 v0, 1
	s_and_saveexec_b64 s[16:17], s[4:5]
	s_cbranch_execz .LBB3_1140
; %bb.1144:                             ;   in Loop: Header=BB3_1143 Depth=1
	global_load_dword v0, v[10:11], off offset:20 glc
	s_waitcnt vmcnt(0)
	buffer_wbinvl1_vol
	v_and_b32_e32 v0, 1, v0
	s_branch .LBB3_1140
.LBB3_1145:
	s_and_saveexec_b64 s[16:17], s[4:5]
	s_cbranch_execz .LBB3_1148
; %bb.1146:
	v_mov_b32_e32 v8, 0
	global_load_dwordx2 v[2:3], v8, s[44:45] offset:40
	global_load_dwordx2 v[9:10], v8, s[44:45] offset:24 glc
	global_load_dwordx2 v[6:7], v8, s[44:45]
	v_mov_b32_e32 v1, s11
	s_mov_b64 s[4:5], 0
	s_waitcnt vmcnt(2)
	v_add_co_u32_e32 v11, vcc, 1, v2
	v_addc_co_u32_e32 v12, vcc, 0, v3, vcc
	v_add_co_u32_e32 v0, vcc, s10, v11
	v_addc_co_u32_e32 v1, vcc, v12, v1, vcc
	v_cmp_eq_u64_e32 vcc, 0, v[0:1]
	v_cndmask_b32_e32 v1, v1, v12, vcc
	v_cndmask_b32_e32 v0, v0, v11, vcc
	v_and_b32_e32 v3, v1, v3
	v_and_b32_e32 v2, v0, v2
	v_mul_lo_u32 v3, v3, 24
	v_mul_hi_u32 v11, v2, 24
	v_mul_lo_u32 v12, v2, 24
	s_waitcnt vmcnt(1)
	v_mov_b32_e32 v2, v9
	v_add_u32_e32 v3, v11, v3
	s_waitcnt vmcnt(0)
	v_add_co_u32_e32 v6, vcc, v6, v12
	v_addc_co_u32_e32 v7, vcc, v7, v3, vcc
	global_store_dwordx2 v[6:7], v[9:10], off
	v_mov_b32_e32 v3, v10
	s_waitcnt vmcnt(0)
	global_atomic_cmpswap_x2 v[2:3], v8, v[0:3], s[44:45] offset:24 glc
	s_waitcnt vmcnt(0)
	v_cmp_ne_u64_e32 vcc, v[2:3], v[9:10]
	s_and_b64 exec, exec, vcc
	s_cbranch_execz .LBB3_1148
.LBB3_1147:                             ; =>This Inner Loop Header: Depth=1
	s_sleep 1
	global_store_dwordx2 v[6:7], v[2:3], off
	s_waitcnt vmcnt(0)
	global_atomic_cmpswap_x2 v[9:10], v8, v[0:3], s[44:45] offset:24 glc
	s_waitcnt vmcnt(0)
	v_cmp_eq_u64_e32 vcc, v[9:10], v[2:3]
	v_mov_b32_e32 v2, v9
	s_or_b64 s[4:5], vcc, s[4:5]
	v_mov_b32_e32 v3, v10
	s_andn2_b64 exec, exec, s[4:5]
	s_cbranch_execnz .LBB3_1147
.LBB3_1148:
	s_or_b64 exec, exec, s[16:17]
	v_readfirstlane_b32 s4, v51
	v_mov_b32_e32 v8, 0
	v_mov_b32_e32 v9, 0
	v_cmp_eq_u32_e64 s[4:5], s4, v51
	s_and_saveexec_b64 s[10:11], s[4:5]
	s_cbranch_execz .LBB3_1154
; %bb.1149:
	v_mov_b32_e32 v0, 0
	global_load_dwordx2 v[10:11], v0, s[44:45] offset:24 glc
	s_waitcnt vmcnt(0)
	buffer_wbinvl1_vol
	global_load_dwordx2 v[1:2], v0, s[44:45] offset:40
	global_load_dwordx2 v[6:7], v0, s[44:45]
	s_waitcnt vmcnt(1)
	v_and_b32_e32 v1, v1, v10
	v_and_b32_e32 v2, v2, v11
	v_mul_lo_u32 v2, v2, 24
	v_mul_hi_u32 v3, v1, 24
	v_mul_lo_u32 v1, v1, 24
	v_add_u32_e32 v2, v3, v2
	s_waitcnt vmcnt(0)
	v_add_co_u32_e32 v1, vcc, v6, v1
	v_addc_co_u32_e32 v2, vcc, v7, v2, vcc
	global_load_dwordx2 v[8:9], v[1:2], off glc
	s_waitcnt vmcnt(0)
	global_atomic_cmpswap_x2 v[8:9], v0, v[8:11], s[44:45] offset:24 glc
	s_waitcnt vmcnt(0)
	buffer_wbinvl1_vol
	v_cmp_ne_u64_e32 vcc, v[8:9], v[10:11]
	s_and_saveexec_b64 s[16:17], vcc
	s_cbranch_execz .LBB3_1153
; %bb.1150:
	s_mov_b64 s[18:19], 0
.LBB3_1151:                             ; =>This Inner Loop Header: Depth=1
	s_sleep 1
	global_load_dwordx2 v[1:2], v0, s[44:45] offset:40
	global_load_dwordx2 v[6:7], v0, s[44:45]
	v_mov_b32_e32 v11, v9
	v_mov_b32_e32 v10, v8
	s_waitcnt vmcnt(1)
	v_and_b32_e32 v1, v1, v10
	s_waitcnt vmcnt(0)
	v_mad_u64_u32 v[6:7], s[20:21], v1, 24, v[6:7]
	v_and_b32_e32 v2, v2, v11
	v_mov_b32_e32 v1, v7
	v_mad_u64_u32 v[1:2], s[20:21], v2, 24, v[1:2]
	v_mov_b32_e32 v7, v1
	global_load_dwordx2 v[8:9], v[6:7], off glc
	s_waitcnt vmcnt(0)
	global_atomic_cmpswap_x2 v[8:9], v0, v[8:11], s[44:45] offset:24 glc
	s_waitcnt vmcnt(0)
	buffer_wbinvl1_vol
	v_cmp_eq_u64_e32 vcc, v[8:9], v[10:11]
	s_or_b64 s[18:19], vcc, s[18:19]
	s_andn2_b64 exec, exec, s[18:19]
	s_cbranch_execnz .LBB3_1151
; %bb.1152:
	s_or_b64 exec, exec, s[18:19]
.LBB3_1153:
	s_or_b64 exec, exec, s[16:17]
.LBB3_1154:
	s_or_b64 exec, exec, s[10:11]
	v_mov_b32_e32 v7, 0
	global_load_dwordx2 v[10:11], v7, s[44:45] offset:40
	global_load_dwordx4 v[0:3], v7, s[44:45]
	v_readfirstlane_b32 s10, v8
	v_readfirstlane_b32 s11, v9
	s_mov_b64 s[16:17], exec
	s_waitcnt vmcnt(1)
	v_readfirstlane_b32 s18, v10
	v_readfirstlane_b32 s19, v11
	s_and_b64 s[18:19], s[10:11], s[18:19]
	s_mul_i32 s15, s19, 24
	s_mul_hi_u32 s20, s18, 24
	s_mul_i32 s21, s18, 24
	s_add_i32 s15, s20, s15
	v_mov_b32_e32 v6, s15
	s_waitcnt vmcnt(0)
	v_add_co_u32_e32 v10, vcc, s21, v0
	v_addc_co_u32_e32 v11, vcc, v1, v6, vcc
	s_and_saveexec_b64 s[20:21], s[4:5]
	s_cbranch_execz .LBB3_1156
; %bb.1155:
	v_mov_b32_e32 v12, s16
	v_mov_b32_e32 v13, s17
	;; [unrolled: 1-line block ×4, first 2 shown]
	global_store_dwordx4 v[10:11], v[12:15], off offset:8
.LBB3_1156:
	s_or_b64 exec, exec, s[20:21]
	s_lshl_b64 s[16:17], s[18:19], 12
	v_mov_b32_e32 v6, s17
	v_add_co_u32_e32 v2, vcc, s16, v2
	v_addc_co_u32_e32 v3, vcc, v3, v6, vcc
	s_mov_b32 s16, 0
	v_mov_b32_e32 v6, 33
	v_mov_b32_e32 v8, v7
	;; [unrolled: 1-line block ×3, first 2 shown]
	v_readfirstlane_b32 s20, v2
	v_readfirstlane_b32 s21, v3
	v_add_co_u32_e32 v12, vcc, v2, v50
	s_mov_b32 s17, s16
	s_mov_b32 s18, s16
	;; [unrolled: 1-line block ×3, first 2 shown]
	s_nop 0
	global_store_dwordx4 v50, v[6:9], s[20:21]
	v_addc_co_u32_e32 v13, vcc, 0, v3, vcc
	v_mov_b32_e32 v6, s16
	v_mov_b32_e32 v7, s17
	;; [unrolled: 1-line block ×4, first 2 shown]
	global_store_dwordx4 v50, v[6:9], s[20:21] offset:16
	global_store_dwordx4 v50, v[6:9], s[20:21] offset:32
	global_store_dwordx4 v50, v[6:9], s[20:21] offset:48
	s_and_saveexec_b64 s[16:17], s[4:5]
	s_cbranch_execz .LBB3_1164
; %bb.1157:
	v_mov_b32_e32 v8, 0
	global_load_dwordx2 v[16:17], v8, s[44:45] offset:32 glc
	global_load_dwordx2 v[2:3], v8, s[44:45] offset:40
	v_mov_b32_e32 v14, s10
	v_mov_b32_e32 v15, s11
	s_waitcnt vmcnt(0)
	v_readfirstlane_b32 s18, v2
	v_readfirstlane_b32 s19, v3
	s_and_b64 s[18:19], s[18:19], s[10:11]
	s_mul_i32 s15, s19, 24
	s_mul_hi_u32 s19, s18, 24
	s_mul_i32 s18, s18, 24
	s_add_i32 s15, s19, s15
	v_mov_b32_e32 v2, s15
	v_add_co_u32_e32 v6, vcc, s18, v0
	v_addc_co_u32_e32 v7, vcc, v1, v2, vcc
	global_store_dwordx2 v[6:7], v[16:17], off
	s_waitcnt vmcnt(0)
	global_atomic_cmpswap_x2 v[2:3], v8, v[14:17], s[44:45] offset:32 glc
	s_waitcnt vmcnt(0)
	v_cmp_ne_u64_e32 vcc, v[2:3], v[16:17]
	s_and_saveexec_b64 s[18:19], vcc
	s_cbranch_execz .LBB3_1160
; %bb.1158:
	s_mov_b64 s[20:21], 0
.LBB3_1159:                             ; =>This Inner Loop Header: Depth=1
	s_sleep 1
	global_store_dwordx2 v[6:7], v[2:3], off
	v_mov_b32_e32 v0, s10
	v_mov_b32_e32 v1, s11
	s_waitcnt vmcnt(0)
	global_atomic_cmpswap_x2 v[0:1], v8, v[0:3], s[44:45] offset:32 glc
	s_waitcnt vmcnt(0)
	v_cmp_eq_u64_e32 vcc, v[0:1], v[2:3]
	v_mov_b32_e32 v3, v1
	s_or_b64 s[20:21], vcc, s[20:21]
	v_mov_b32_e32 v2, v0
	s_andn2_b64 exec, exec, s[20:21]
	s_cbranch_execnz .LBB3_1159
.LBB3_1160:
	s_or_b64 exec, exec, s[18:19]
	v_mov_b32_e32 v3, 0
	global_load_dwordx2 v[0:1], v3, s[44:45] offset:16
	s_mov_b64 s[18:19], exec
	v_mbcnt_lo_u32_b32 v2, s18, 0
	v_mbcnt_hi_u32_b32 v2, s19, v2
	v_cmp_eq_u32_e32 vcc, 0, v2
	s_and_saveexec_b64 s[20:21], vcc
	s_cbranch_execz .LBB3_1162
; %bb.1161:
	s_bcnt1_i32_b64 s15, s[18:19]
	v_mov_b32_e32 v2, s15
	s_waitcnt vmcnt(0)
	global_atomic_add_x2 v[0:1], v[2:3], off offset:8
.LBB3_1162:
	s_or_b64 exec, exec, s[20:21]
	s_waitcnt vmcnt(0)
	global_load_dwordx2 v[2:3], v[0:1], off offset:16
	s_waitcnt vmcnt(0)
	v_cmp_eq_u64_e32 vcc, 0, v[2:3]
	s_cbranch_vccnz .LBB3_1164
; %bb.1163:
	global_load_dword v0, v[0:1], off offset:24
	v_mov_b32_e32 v1, 0
	s_waitcnt vmcnt(0)
	global_store_dwordx2 v[2:3], v[0:1], off
	v_and_b32_e32 v0, 0xffffff, v0
	v_readfirstlane_b32 m0, v0
	s_sendmsg sendmsg(MSG_INTERRUPT)
.LBB3_1164:
	s_or_b64 exec, exec, s[16:17]
	s_branch .LBB3_1168
.LBB3_1165:                             ;   in Loop: Header=BB3_1168 Depth=1
	s_or_b64 exec, exec, s[16:17]
	v_readfirstlane_b32 s15, v0
	s_cmp_eq_u32 s15, 0
	s_cbranch_scc1 .LBB3_1167
; %bb.1166:                             ;   in Loop: Header=BB3_1168 Depth=1
	s_sleep 1
	s_cbranch_execnz .LBB3_1168
	s_branch .LBB3_1170
.LBB3_1167:
	s_branch .LBB3_1170
.LBB3_1168:                             ; =>This Inner Loop Header: Depth=1
	v_mov_b32_e32 v0, 1
	s_and_saveexec_b64 s[16:17], s[4:5]
	s_cbranch_execz .LBB3_1165
; %bb.1169:                             ;   in Loop: Header=BB3_1168 Depth=1
	global_load_dword v0, v[10:11], off offset:20 glc
	s_waitcnt vmcnt(0)
	buffer_wbinvl1_vol
	v_and_b32_e32 v0, 1, v0
	s_branch .LBB3_1165
.LBB3_1170:
	global_load_dwordx2 v[0:1], v[12:13], off
	s_and_saveexec_b64 s[16:17], s[4:5]
	s_cbranch_execz .LBB3_1173
; %bb.1171:
	v_mov_b32_e32 v10, 0
	global_load_dwordx2 v[2:3], v10, s[44:45] offset:40
	global_load_dwordx2 v[11:12], v10, s[44:45] offset:24 glc
	global_load_dwordx2 v[13:14], v10, s[44:45]
	v_mov_b32_e32 v7, s11
	s_mov_b64 s[4:5], 0
	s_waitcnt vmcnt(2)
	v_add_co_u32_e32 v8, vcc, 1, v2
	v_addc_co_u32_e32 v9, vcc, 0, v3, vcc
	v_add_co_u32_e32 v6, vcc, s10, v8
	v_addc_co_u32_e32 v7, vcc, v9, v7, vcc
	v_cmp_eq_u64_e32 vcc, 0, v[6:7]
	v_cndmask_b32_e32 v7, v7, v9, vcc
	v_cndmask_b32_e32 v6, v6, v8, vcc
	v_and_b32_e32 v3, v7, v3
	v_and_b32_e32 v2, v6, v2
	v_mul_lo_u32 v3, v3, 24
	v_mul_hi_u32 v9, v2, 24
	v_mul_lo_u32 v2, v2, 24
	s_waitcnt vmcnt(1)
	v_mov_b32_e32 v8, v11
	v_add_u32_e32 v3, v9, v3
	s_waitcnt vmcnt(0)
	v_add_co_u32_e32 v2, vcc, v13, v2
	v_addc_co_u32_e32 v3, vcc, v14, v3, vcc
	global_store_dwordx2 v[2:3], v[11:12], off
	v_mov_b32_e32 v9, v12
	s_waitcnt vmcnt(0)
	global_atomic_cmpswap_x2 v[8:9], v10, v[6:9], s[44:45] offset:24 glc
	s_waitcnt vmcnt(0)
	v_cmp_ne_u64_e32 vcc, v[8:9], v[11:12]
	s_and_b64 exec, exec, vcc
	s_cbranch_execz .LBB3_1173
.LBB3_1172:                             ; =>This Inner Loop Header: Depth=1
	s_sleep 1
	global_store_dwordx2 v[2:3], v[8:9], off
	s_waitcnt vmcnt(0)
	global_atomic_cmpswap_x2 v[11:12], v10, v[6:9], s[44:45] offset:24 glc
	s_waitcnt vmcnt(0)
	v_cmp_eq_u64_e32 vcc, v[11:12], v[8:9]
	v_mov_b32_e32 v8, v11
	s_or_b64 s[4:5], vcc, s[4:5]
	v_mov_b32_e32 v9, v12
	s_andn2_b64 exec, exec, s[4:5]
	s_cbranch_execnz .LBB3_1172
.LBB3_1173:
	s_or_b64 exec, exec, s[16:17]
	s_and_b64 vcc, exec, s[46:47]
	s_cbranch_vccz .LBB3_1258
; %bb.1174:
	s_waitcnt vmcnt(0)
	v_and_b32_e32 v34, 2, v0
	v_mov_b32_e32 v3, 0
	v_and_b32_e32 v6, -3, v0
	v_mov_b32_e32 v7, v1
	s_mov_b64 s[16:17], 3
	v_mov_b32_e32 v10, 2
	v_mov_b32_e32 v11, 1
	s_getpc_b64 s[10:11]
	s_add_u32 s10, s10, .str.6@rel32@lo+4
	s_addc_u32 s11, s11, .str.6@rel32@hi+12
	s_branch .LBB3_1176
.LBB3_1175:                             ;   in Loop: Header=BB3_1176 Depth=1
	s_or_b64 exec, exec, s[22:23]
	s_sub_u32 s16, s16, s18
	s_subb_u32 s17, s17, s19
	s_add_u32 s10, s10, s18
	s_addc_u32 s11, s11, s19
	s_cmp_lg_u64 s[16:17], 0
	s_cbranch_scc0 .LBB3_1257
.LBB3_1176:                             ; =>This Loop Header: Depth=1
                                        ;     Child Loop BB3_1179 Depth 2
                                        ;     Child Loop BB3_1186 Depth 2
	;; [unrolled: 1-line block ×11, first 2 shown]
	v_cmp_lt_u64_e64 s[4:5], s[16:17], 56
	v_cmp_gt_u64_e64 s[20:21], s[16:17], 7
	s_and_b64 s[4:5], s[4:5], exec
	s_cselect_b32 s19, s17, 0
	s_cselect_b32 s18, s16, 56
	s_and_b64 vcc, exec, s[20:21]
	s_cbranch_vccnz .LBB3_1181
; %bb.1177:                             ;   in Loop: Header=BB3_1176 Depth=1
	v_mov_b32_e32 v14, 0
	s_cmp_eq_u64 s[16:17], 0
	v_mov_b32_e32 v15, 0
	s_mov_b64 s[4:5], 0
	s_cbranch_scc1 .LBB3_1180
; %bb.1178:                             ;   in Loop: Header=BB3_1176 Depth=1
	v_mov_b32_e32 v14, 0
	s_lshl_b64 s[20:21], s[18:19], 3
	s_mov_b64 s[22:23], 0
	v_mov_b32_e32 v15, 0
	s_mov_b64 s[24:25], s[10:11]
.LBB3_1179:                             ;   Parent Loop BB3_1176 Depth=1
                                        ; =>  This Inner Loop Header: Depth=2
	global_load_ubyte v2, v3, s[24:25]
	s_waitcnt vmcnt(0)
	v_and_b32_e32 v2, 0xffff, v2
	v_lshlrev_b64 v[8:9], s22, v[2:3]
	s_add_u32 s22, s22, 8
	s_addc_u32 s23, s23, 0
	s_add_u32 s24, s24, 1
	s_addc_u32 s25, s25, 0
	v_or_b32_e32 v14, v8, v14
	s_cmp_lg_u32 s20, s22
	v_or_b32_e32 v15, v9, v15
	s_cbranch_scc1 .LBB3_1179
.LBB3_1180:                             ;   in Loop: Header=BB3_1176 Depth=1
	s_mov_b32 s15, 0
	s_andn2_b64 vcc, exec, s[4:5]
	s_mov_b64 s[4:5], s[10:11]
	s_cbranch_vccz .LBB3_1182
	s_branch .LBB3_1183
.LBB3_1181:                             ;   in Loop: Header=BB3_1176 Depth=1
                                        ; implicit-def: $vgpr14_vgpr15
                                        ; implicit-def: $sgpr15
	s_mov_b64 s[4:5], s[10:11]
.LBB3_1182:                             ;   in Loop: Header=BB3_1176 Depth=1
	global_load_dwordx2 v[14:15], v3, s[10:11]
	s_add_i32 s15, s18, -8
	s_add_u32 s4, s10, 8
	s_addc_u32 s5, s11, 0
.LBB3_1183:                             ;   in Loop: Header=BB3_1176 Depth=1
	s_cmp_gt_u32 s15, 7
	s_cbranch_scc1 .LBB3_1187
; %bb.1184:                             ;   in Loop: Header=BB3_1176 Depth=1
	s_cmp_eq_u32 s15, 0
	s_cbranch_scc1 .LBB3_1188
; %bb.1185:                             ;   in Loop: Header=BB3_1176 Depth=1
	v_mov_b32_e32 v16, 0
	s_mov_b64 s[20:21], 0
	v_mov_b32_e32 v17, 0
	s_mov_b64 s[22:23], 0
.LBB3_1186:                             ;   Parent Loop BB3_1176 Depth=1
                                        ; =>  This Inner Loop Header: Depth=2
	s_add_u32 s24, s4, s22
	s_addc_u32 s25, s5, s23
	global_load_ubyte v2, v3, s[24:25]
	s_add_u32 s22, s22, 1
	s_addc_u32 s23, s23, 0
	s_waitcnt vmcnt(0)
	v_and_b32_e32 v2, 0xffff, v2
	v_lshlrev_b64 v[8:9], s20, v[2:3]
	s_add_u32 s20, s20, 8
	s_addc_u32 s21, s21, 0
	v_or_b32_e32 v16, v8, v16
	s_cmp_lg_u32 s15, s22
	v_or_b32_e32 v17, v9, v17
	s_cbranch_scc1 .LBB3_1186
	s_branch .LBB3_1189
.LBB3_1187:                             ;   in Loop: Header=BB3_1176 Depth=1
                                        ; implicit-def: $vgpr16_vgpr17
                                        ; implicit-def: $sgpr24
	s_branch .LBB3_1190
.LBB3_1188:                             ;   in Loop: Header=BB3_1176 Depth=1
	v_mov_b32_e32 v16, 0
	v_mov_b32_e32 v17, 0
.LBB3_1189:                             ;   in Loop: Header=BB3_1176 Depth=1
	s_mov_b32 s24, 0
	s_cbranch_execnz .LBB3_1191
.LBB3_1190:                             ;   in Loop: Header=BB3_1176 Depth=1
	global_load_dwordx2 v[16:17], v3, s[4:5]
	s_add_i32 s24, s15, -8
	s_add_u32 s4, s4, 8
	s_addc_u32 s5, s5, 0
.LBB3_1191:                             ;   in Loop: Header=BB3_1176 Depth=1
	s_cmp_gt_u32 s24, 7
	s_cbranch_scc1 .LBB3_1195
; %bb.1192:                             ;   in Loop: Header=BB3_1176 Depth=1
	s_cmp_eq_u32 s24, 0
	s_cbranch_scc1 .LBB3_1196
; %bb.1193:                             ;   in Loop: Header=BB3_1176 Depth=1
	v_mov_b32_e32 v18, 0
	s_mov_b64 s[20:21], 0
	v_mov_b32_e32 v19, 0
	s_mov_b64 s[22:23], 0
.LBB3_1194:                             ;   Parent Loop BB3_1176 Depth=1
                                        ; =>  This Inner Loop Header: Depth=2
	s_add_u32 s26, s4, s22
	s_addc_u32 s27, s5, s23
	global_load_ubyte v2, v3, s[26:27]
	s_add_u32 s22, s22, 1
	s_addc_u32 s23, s23, 0
	s_waitcnt vmcnt(0)
	v_and_b32_e32 v2, 0xffff, v2
	v_lshlrev_b64 v[8:9], s20, v[2:3]
	s_add_u32 s20, s20, 8
	s_addc_u32 s21, s21, 0
	v_or_b32_e32 v18, v8, v18
	s_cmp_lg_u32 s24, s22
	v_or_b32_e32 v19, v9, v19
	s_cbranch_scc1 .LBB3_1194
	s_branch .LBB3_1197
.LBB3_1195:                             ;   in Loop: Header=BB3_1176 Depth=1
                                        ; implicit-def: $sgpr15
	s_branch .LBB3_1198
.LBB3_1196:                             ;   in Loop: Header=BB3_1176 Depth=1
	v_mov_b32_e32 v18, 0
	v_mov_b32_e32 v19, 0
.LBB3_1197:                             ;   in Loop: Header=BB3_1176 Depth=1
	s_mov_b32 s15, 0
	s_cbranch_execnz .LBB3_1199
.LBB3_1198:                             ;   in Loop: Header=BB3_1176 Depth=1
	global_load_dwordx2 v[18:19], v3, s[4:5]
	s_add_i32 s15, s24, -8
	s_add_u32 s4, s4, 8
	s_addc_u32 s5, s5, 0
.LBB3_1199:                             ;   in Loop: Header=BB3_1176 Depth=1
	s_cmp_gt_u32 s15, 7
	s_cbranch_scc1 .LBB3_1203
; %bb.1200:                             ;   in Loop: Header=BB3_1176 Depth=1
	s_cmp_eq_u32 s15, 0
	s_cbranch_scc1 .LBB3_1204
; %bb.1201:                             ;   in Loop: Header=BB3_1176 Depth=1
	v_mov_b32_e32 v20, 0
	s_mov_b64 s[20:21], 0
	v_mov_b32_e32 v21, 0
	s_mov_b64 s[22:23], 0
.LBB3_1202:                             ;   Parent Loop BB3_1176 Depth=1
                                        ; =>  This Inner Loop Header: Depth=2
	s_add_u32 s24, s4, s22
	s_addc_u32 s25, s5, s23
	global_load_ubyte v2, v3, s[24:25]
	s_add_u32 s22, s22, 1
	s_addc_u32 s23, s23, 0
	s_waitcnt vmcnt(0)
	v_and_b32_e32 v2, 0xffff, v2
	v_lshlrev_b64 v[8:9], s20, v[2:3]
	s_add_u32 s20, s20, 8
	s_addc_u32 s21, s21, 0
	v_or_b32_e32 v20, v8, v20
	s_cmp_lg_u32 s15, s22
	v_or_b32_e32 v21, v9, v21
	s_cbranch_scc1 .LBB3_1202
	s_branch .LBB3_1205
.LBB3_1203:                             ;   in Loop: Header=BB3_1176 Depth=1
                                        ; implicit-def: $vgpr20_vgpr21
                                        ; implicit-def: $sgpr24
	s_branch .LBB3_1206
.LBB3_1204:                             ;   in Loop: Header=BB3_1176 Depth=1
	v_mov_b32_e32 v20, 0
	v_mov_b32_e32 v21, 0
.LBB3_1205:                             ;   in Loop: Header=BB3_1176 Depth=1
	s_mov_b32 s24, 0
	s_cbranch_execnz .LBB3_1207
.LBB3_1206:                             ;   in Loop: Header=BB3_1176 Depth=1
	global_load_dwordx2 v[20:21], v3, s[4:5]
	s_add_i32 s24, s15, -8
	s_add_u32 s4, s4, 8
	s_addc_u32 s5, s5, 0
.LBB3_1207:                             ;   in Loop: Header=BB3_1176 Depth=1
	s_cmp_gt_u32 s24, 7
	s_cbranch_scc1 .LBB3_1211
; %bb.1208:                             ;   in Loop: Header=BB3_1176 Depth=1
	s_cmp_eq_u32 s24, 0
	s_cbranch_scc1 .LBB3_1212
; %bb.1209:                             ;   in Loop: Header=BB3_1176 Depth=1
	v_mov_b32_e32 v22, 0
	s_mov_b64 s[20:21], 0
	v_mov_b32_e32 v23, 0
	s_mov_b64 s[22:23], 0
.LBB3_1210:                             ;   Parent Loop BB3_1176 Depth=1
                                        ; =>  This Inner Loop Header: Depth=2
	s_add_u32 s26, s4, s22
	s_addc_u32 s27, s5, s23
	global_load_ubyte v2, v3, s[26:27]
	s_add_u32 s22, s22, 1
	s_addc_u32 s23, s23, 0
	s_waitcnt vmcnt(0)
	v_and_b32_e32 v2, 0xffff, v2
	v_lshlrev_b64 v[8:9], s20, v[2:3]
	s_add_u32 s20, s20, 8
	s_addc_u32 s21, s21, 0
	v_or_b32_e32 v22, v8, v22
	s_cmp_lg_u32 s24, s22
	v_or_b32_e32 v23, v9, v23
	s_cbranch_scc1 .LBB3_1210
	s_branch .LBB3_1213
.LBB3_1211:                             ;   in Loop: Header=BB3_1176 Depth=1
                                        ; implicit-def: $sgpr15
	s_branch .LBB3_1214
.LBB3_1212:                             ;   in Loop: Header=BB3_1176 Depth=1
	v_mov_b32_e32 v22, 0
	v_mov_b32_e32 v23, 0
.LBB3_1213:                             ;   in Loop: Header=BB3_1176 Depth=1
	s_mov_b32 s15, 0
	s_cbranch_execnz .LBB3_1215
.LBB3_1214:                             ;   in Loop: Header=BB3_1176 Depth=1
	global_load_dwordx2 v[22:23], v3, s[4:5]
	s_add_i32 s15, s24, -8
	s_add_u32 s4, s4, 8
	s_addc_u32 s5, s5, 0
.LBB3_1215:                             ;   in Loop: Header=BB3_1176 Depth=1
	s_cmp_gt_u32 s15, 7
	s_cbranch_scc1 .LBB3_1219
; %bb.1216:                             ;   in Loop: Header=BB3_1176 Depth=1
	s_cmp_eq_u32 s15, 0
	s_cbranch_scc1 .LBB3_1220
; %bb.1217:                             ;   in Loop: Header=BB3_1176 Depth=1
	v_mov_b32_e32 v24, 0
	s_mov_b64 s[20:21], 0
	v_mov_b32_e32 v25, 0
	s_mov_b64 s[22:23], 0
.LBB3_1218:                             ;   Parent Loop BB3_1176 Depth=1
                                        ; =>  This Inner Loop Header: Depth=2
	s_add_u32 s24, s4, s22
	s_addc_u32 s25, s5, s23
	global_load_ubyte v2, v3, s[24:25]
	s_add_u32 s22, s22, 1
	s_addc_u32 s23, s23, 0
	s_waitcnt vmcnt(0)
	v_and_b32_e32 v2, 0xffff, v2
	v_lshlrev_b64 v[8:9], s20, v[2:3]
	s_add_u32 s20, s20, 8
	s_addc_u32 s21, s21, 0
	v_or_b32_e32 v24, v8, v24
	s_cmp_lg_u32 s15, s22
	v_or_b32_e32 v25, v9, v25
	s_cbranch_scc1 .LBB3_1218
	s_branch .LBB3_1221
.LBB3_1219:                             ;   in Loop: Header=BB3_1176 Depth=1
                                        ; implicit-def: $vgpr24_vgpr25
                                        ; implicit-def: $sgpr24
	s_branch .LBB3_1222
.LBB3_1220:                             ;   in Loop: Header=BB3_1176 Depth=1
	v_mov_b32_e32 v24, 0
	v_mov_b32_e32 v25, 0
.LBB3_1221:                             ;   in Loop: Header=BB3_1176 Depth=1
	s_mov_b32 s24, 0
	s_cbranch_execnz .LBB3_1223
.LBB3_1222:                             ;   in Loop: Header=BB3_1176 Depth=1
	global_load_dwordx2 v[24:25], v3, s[4:5]
	s_add_i32 s24, s15, -8
	s_add_u32 s4, s4, 8
	s_addc_u32 s5, s5, 0
.LBB3_1223:                             ;   in Loop: Header=BB3_1176 Depth=1
	s_cmp_gt_u32 s24, 7
	s_cbranch_scc1 .LBB3_1227
; %bb.1224:                             ;   in Loop: Header=BB3_1176 Depth=1
	s_cmp_eq_u32 s24, 0
	s_cbranch_scc1 .LBB3_1228
; %bb.1225:                             ;   in Loop: Header=BB3_1176 Depth=1
	v_mov_b32_e32 v26, 0
	s_mov_b64 s[20:21], 0
	v_mov_b32_e32 v27, 0
	s_mov_b64 s[22:23], s[4:5]
.LBB3_1226:                             ;   Parent Loop BB3_1176 Depth=1
                                        ; =>  This Inner Loop Header: Depth=2
	global_load_ubyte v2, v3, s[22:23]
	s_add_i32 s24, s24, -1
	s_waitcnt vmcnt(0)
	v_and_b32_e32 v2, 0xffff, v2
	v_lshlrev_b64 v[8:9], s20, v[2:3]
	s_add_u32 s20, s20, 8
	s_addc_u32 s21, s21, 0
	s_add_u32 s22, s22, 1
	s_addc_u32 s23, s23, 0
	v_or_b32_e32 v26, v8, v26
	s_cmp_lg_u32 s24, 0
	v_or_b32_e32 v27, v9, v27
	s_cbranch_scc1 .LBB3_1226
	s_branch .LBB3_1229
.LBB3_1227:                             ;   in Loop: Header=BB3_1176 Depth=1
	s_branch .LBB3_1230
.LBB3_1228:                             ;   in Loop: Header=BB3_1176 Depth=1
	v_mov_b32_e32 v26, 0
	v_mov_b32_e32 v27, 0
.LBB3_1229:                             ;   in Loop: Header=BB3_1176 Depth=1
	s_cbranch_execnz .LBB3_1231
.LBB3_1230:                             ;   in Loop: Header=BB3_1176 Depth=1
	global_load_dwordx2 v[26:27], v3, s[4:5]
.LBB3_1231:                             ;   in Loop: Header=BB3_1176 Depth=1
	v_readfirstlane_b32 s4, v51
	s_waitcnt vmcnt(0)
	v_mov_b32_e32 v8, 0
	v_mov_b32_e32 v9, 0
	v_cmp_eq_u32_e64 s[4:5], s4, v51
	s_and_saveexec_b64 s[20:21], s[4:5]
	s_cbranch_execz .LBB3_1237
; %bb.1232:                             ;   in Loop: Header=BB3_1176 Depth=1
	global_load_dwordx2 v[30:31], v3, s[44:45] offset:24 glc
	s_waitcnt vmcnt(0)
	buffer_wbinvl1_vol
	global_load_dwordx2 v[8:9], v3, s[44:45] offset:40
	global_load_dwordx2 v[12:13], v3, s[44:45]
	s_waitcnt vmcnt(1)
	v_and_b32_e32 v2, v8, v30
	v_and_b32_e32 v8, v9, v31
	v_mul_lo_u32 v8, v8, 24
	v_mul_hi_u32 v9, v2, 24
	v_mul_lo_u32 v2, v2, 24
	v_add_u32_e32 v9, v9, v8
	s_waitcnt vmcnt(0)
	v_add_co_u32_e32 v8, vcc, v12, v2
	v_addc_co_u32_e32 v9, vcc, v13, v9, vcc
	global_load_dwordx2 v[28:29], v[8:9], off glc
	s_waitcnt vmcnt(0)
	global_atomic_cmpswap_x2 v[8:9], v3, v[28:31], s[44:45] offset:24 glc
	s_waitcnt vmcnt(0)
	buffer_wbinvl1_vol
	v_cmp_ne_u64_e32 vcc, v[8:9], v[30:31]
	s_and_saveexec_b64 s[22:23], vcc
	s_cbranch_execz .LBB3_1236
; %bb.1233:                             ;   in Loop: Header=BB3_1176 Depth=1
	s_mov_b64 s[24:25], 0
.LBB3_1234:                             ;   Parent Loop BB3_1176 Depth=1
                                        ; =>  This Inner Loop Header: Depth=2
	s_sleep 1
	global_load_dwordx2 v[12:13], v3, s[44:45] offset:40
	global_load_dwordx2 v[28:29], v3, s[44:45]
	v_mov_b32_e32 v31, v9
	v_mov_b32_e32 v30, v8
	s_waitcnt vmcnt(1)
	v_and_b32_e32 v2, v12, v30
	s_waitcnt vmcnt(0)
	v_mad_u64_u32 v[8:9], s[26:27], v2, 24, v[28:29]
	v_and_b32_e32 v12, v13, v31
	v_mov_b32_e32 v2, v9
	v_mad_u64_u32 v[12:13], s[26:27], v12, 24, v[2:3]
	v_mov_b32_e32 v9, v12
	global_load_dwordx2 v[28:29], v[8:9], off glc
	s_waitcnt vmcnt(0)
	global_atomic_cmpswap_x2 v[8:9], v3, v[28:31], s[44:45] offset:24 glc
	s_waitcnt vmcnt(0)
	buffer_wbinvl1_vol
	v_cmp_eq_u64_e32 vcc, v[8:9], v[30:31]
	s_or_b64 s[24:25], vcc, s[24:25]
	s_andn2_b64 exec, exec, s[24:25]
	s_cbranch_execnz .LBB3_1234
; %bb.1235:                             ;   in Loop: Header=BB3_1176 Depth=1
	s_or_b64 exec, exec, s[24:25]
.LBB3_1236:                             ;   in Loop: Header=BB3_1176 Depth=1
	s_or_b64 exec, exec, s[22:23]
.LBB3_1237:                             ;   in Loop: Header=BB3_1176 Depth=1
	s_or_b64 exec, exec, s[20:21]
	global_load_dwordx2 v[12:13], v3, s[44:45] offset:40
	global_load_dwordx4 v[28:31], v3, s[44:45]
	v_readfirstlane_b32 s20, v8
	v_readfirstlane_b32 s21, v9
	s_mov_b64 s[22:23], exec
	s_waitcnt vmcnt(1)
	v_readfirstlane_b32 s24, v12
	v_readfirstlane_b32 s25, v13
	s_and_b64 s[24:25], s[20:21], s[24:25]
	s_mul_i32 s15, s25, 24
	s_mul_hi_u32 s26, s24, 24
	s_mul_i32 s27, s24, 24
	s_add_i32 s15, s26, s15
	v_mov_b32_e32 v2, s15
	s_waitcnt vmcnt(0)
	v_add_co_u32_e32 v32, vcc, s27, v28
	v_addc_co_u32_e32 v33, vcc, v29, v2, vcc
	s_and_saveexec_b64 s[26:27], s[4:5]
	s_cbranch_execz .LBB3_1239
; %bb.1238:                             ;   in Loop: Header=BB3_1176 Depth=1
	v_mov_b32_e32 v8, s22
	v_mov_b32_e32 v9, s23
	global_store_dwordx4 v[32:33], v[8:11], off offset:8
.LBB3_1239:                             ;   in Loop: Header=BB3_1176 Depth=1
	s_or_b64 exec, exec, s[26:27]
	s_lshl_b64 s[22:23], s[24:25], 12
	v_mov_b32_e32 v2, s23
	v_add_co_u32_e32 v30, vcc, s22, v30
	v_addc_co_u32_e32 v31, vcc, v31, v2, vcc
	v_cmp_gt_u64_e64 vcc, s[16:17], 56
	v_or_b32_e32 v2, 0, v7
	v_or_b32_e32 v8, v6, v34
	s_lshl_b32 s15, s18, 2
	v_cndmask_b32_e32 v13, v2, v7, vcc
	v_cndmask_b32_e32 v2, v8, v6, vcc
	s_add_i32 s15, s15, 28
	s_and_b32 s15, s15, 0x1e0
	v_and_b32_e32 v2, 0xffffff1f, v2
	v_or_b32_e32 v12, s15, v2
	v_readfirstlane_b32 s22, v30
	v_readfirstlane_b32 s23, v31
	s_nop 4
	global_store_dwordx4 v50, v[12:15], s[22:23]
	global_store_dwordx4 v50, v[16:19], s[22:23] offset:16
	global_store_dwordx4 v50, v[20:23], s[22:23] offset:32
	;; [unrolled: 1-line block ×3, first 2 shown]
	s_and_saveexec_b64 s[22:23], s[4:5]
	s_cbranch_execz .LBB3_1247
; %bb.1240:                             ;   in Loop: Header=BB3_1176 Depth=1
	global_load_dwordx2 v[16:17], v3, s[44:45] offset:32 glc
	global_load_dwordx2 v[6:7], v3, s[44:45] offset:40
	v_mov_b32_e32 v14, s20
	v_mov_b32_e32 v15, s21
	s_waitcnt vmcnt(0)
	v_readfirstlane_b32 s24, v6
	v_readfirstlane_b32 s25, v7
	s_and_b64 s[24:25], s[24:25], s[20:21]
	s_mul_i32 s15, s25, 24
	s_mul_hi_u32 s25, s24, 24
	s_mul_i32 s24, s24, 24
	s_add_i32 s15, s25, s15
	v_mov_b32_e32 v2, s15
	v_add_co_u32_e32 v12, vcc, s24, v28
	v_addc_co_u32_e32 v13, vcc, v29, v2, vcc
	global_store_dwordx2 v[12:13], v[16:17], off
	s_waitcnt vmcnt(0)
	global_atomic_cmpswap_x2 v[8:9], v3, v[14:17], s[44:45] offset:32 glc
	s_waitcnt vmcnt(0)
	v_cmp_ne_u64_e32 vcc, v[8:9], v[16:17]
	s_and_saveexec_b64 s[24:25], vcc
	s_cbranch_execz .LBB3_1243
; %bb.1241:                             ;   in Loop: Header=BB3_1176 Depth=1
	s_mov_b64 s[26:27], 0
.LBB3_1242:                             ;   Parent Loop BB3_1176 Depth=1
                                        ; =>  This Inner Loop Header: Depth=2
	s_sleep 1
	global_store_dwordx2 v[12:13], v[8:9], off
	v_mov_b32_e32 v6, s20
	v_mov_b32_e32 v7, s21
	s_waitcnt vmcnt(0)
	global_atomic_cmpswap_x2 v[6:7], v3, v[6:9], s[44:45] offset:32 glc
	s_waitcnt vmcnt(0)
	v_cmp_eq_u64_e32 vcc, v[6:7], v[8:9]
	v_mov_b32_e32 v9, v7
	s_or_b64 s[26:27], vcc, s[26:27]
	v_mov_b32_e32 v8, v6
	s_andn2_b64 exec, exec, s[26:27]
	s_cbranch_execnz .LBB3_1242
.LBB3_1243:                             ;   in Loop: Header=BB3_1176 Depth=1
	s_or_b64 exec, exec, s[24:25]
	global_load_dwordx2 v[6:7], v3, s[44:45] offset:16
	s_mov_b64 s[26:27], exec
	v_mbcnt_lo_u32_b32 v2, s26, 0
	v_mbcnt_hi_u32_b32 v2, s27, v2
	v_cmp_eq_u32_e32 vcc, 0, v2
	s_and_saveexec_b64 s[24:25], vcc
	s_cbranch_execz .LBB3_1245
; %bb.1244:                             ;   in Loop: Header=BB3_1176 Depth=1
	s_bcnt1_i32_b64 s15, s[26:27]
	v_mov_b32_e32 v2, s15
	s_waitcnt vmcnt(0)
	global_atomic_add_x2 v[6:7], v[2:3], off offset:8
.LBB3_1245:                             ;   in Loop: Header=BB3_1176 Depth=1
	s_or_b64 exec, exec, s[24:25]
	s_waitcnt vmcnt(0)
	global_load_dwordx2 v[8:9], v[6:7], off offset:16
	s_waitcnt vmcnt(0)
	v_cmp_eq_u64_e32 vcc, 0, v[8:9]
	s_cbranch_vccnz .LBB3_1247
; %bb.1246:                             ;   in Loop: Header=BB3_1176 Depth=1
	global_load_dword v2, v[6:7], off offset:24
	s_waitcnt vmcnt(0)
	global_store_dwordx2 v[8:9], v[2:3], off
	v_and_b32_e32 v2, 0xffffff, v2
	v_readfirstlane_b32 m0, v2
	s_sendmsg sendmsg(MSG_INTERRUPT)
.LBB3_1247:                             ;   in Loop: Header=BB3_1176 Depth=1
	s_or_b64 exec, exec, s[22:23]
	v_add_co_u32_e32 v6, vcc, v30, v50
	v_addc_co_u32_e32 v7, vcc, 0, v31, vcc
	s_branch .LBB3_1251
.LBB3_1248:                             ;   in Loop: Header=BB3_1251 Depth=2
	s_or_b64 exec, exec, s[22:23]
	v_readfirstlane_b32 s15, v2
	s_cmp_eq_u32 s15, 0
	s_cbranch_scc1 .LBB3_1250
; %bb.1249:                             ;   in Loop: Header=BB3_1251 Depth=2
	s_sleep 1
	s_cbranch_execnz .LBB3_1251
	s_branch .LBB3_1253
.LBB3_1250:                             ;   in Loop: Header=BB3_1176 Depth=1
	s_branch .LBB3_1253
.LBB3_1251:                             ;   Parent Loop BB3_1176 Depth=1
                                        ; =>  This Inner Loop Header: Depth=2
	v_mov_b32_e32 v2, 1
	s_and_saveexec_b64 s[22:23], s[4:5]
	s_cbranch_execz .LBB3_1248
; %bb.1252:                             ;   in Loop: Header=BB3_1251 Depth=2
	global_load_dword v2, v[32:33], off offset:20 glc
	s_waitcnt vmcnt(0)
	buffer_wbinvl1_vol
	v_and_b32_e32 v2, 1, v2
	s_branch .LBB3_1248
.LBB3_1253:                             ;   in Loop: Header=BB3_1176 Depth=1
	global_load_dwordx4 v[6:9], v[6:7], off
	s_and_saveexec_b64 s[22:23], s[4:5]
	s_cbranch_execz .LBB3_1175
; %bb.1254:                             ;   in Loop: Header=BB3_1176 Depth=1
	global_load_dwordx2 v[8:9], v3, s[44:45] offset:40
	global_load_dwordx2 v[16:17], v3, s[44:45] offset:24 glc
	global_load_dwordx2 v[18:19], v3, s[44:45]
	v_mov_b32_e32 v2, s21
	s_waitcnt vmcnt(2)
	v_add_co_u32_e32 v14, vcc, 1, v8
	v_addc_co_u32_e32 v15, vcc, 0, v9, vcc
	v_add_co_u32_e32 v12, vcc, s20, v14
	v_addc_co_u32_e32 v13, vcc, v15, v2, vcc
	v_cmp_eq_u64_e32 vcc, 0, v[12:13]
	v_cndmask_b32_e32 v13, v13, v15, vcc
	v_cndmask_b32_e32 v12, v12, v14, vcc
	v_and_b32_e32 v2, v13, v9
	v_and_b32_e32 v8, v12, v8
	v_mul_lo_u32 v2, v2, 24
	v_mul_hi_u32 v9, v8, 24
	v_mul_lo_u32 v8, v8, 24
	s_waitcnt vmcnt(1)
	v_mov_b32_e32 v14, v16
	v_mov_b32_e32 v15, v17
	v_add_u32_e32 v2, v9, v2
	s_waitcnt vmcnt(0)
	v_add_co_u32_e32 v8, vcc, v18, v8
	v_addc_co_u32_e32 v9, vcc, v19, v2, vcc
	global_store_dwordx2 v[8:9], v[16:17], off
	s_waitcnt vmcnt(0)
	global_atomic_cmpswap_x2 v[14:15], v3, v[12:15], s[44:45] offset:24 glc
	s_waitcnt vmcnt(0)
	v_cmp_ne_u64_e32 vcc, v[14:15], v[16:17]
	s_and_b64 exec, exec, vcc
	s_cbranch_execz .LBB3_1175
; %bb.1255:                             ;   in Loop: Header=BB3_1176 Depth=1
	s_mov_b64 s[4:5], 0
.LBB3_1256:                             ;   Parent Loop BB3_1176 Depth=1
                                        ; =>  This Inner Loop Header: Depth=2
	s_sleep 1
	global_store_dwordx2 v[8:9], v[14:15], off
	s_waitcnt vmcnt(0)
	global_atomic_cmpswap_x2 v[16:17], v3, v[12:15], s[44:45] offset:24 glc
	s_waitcnt vmcnt(0)
	v_cmp_eq_u64_e32 vcc, v[16:17], v[14:15]
	v_mov_b32_e32 v14, v16
	s_or_b64 s[4:5], vcc, s[4:5]
	v_mov_b32_e32 v15, v17
	s_andn2_b64 exec, exec, s[4:5]
	s_cbranch_execnz .LBB3_1256
	s_branch .LBB3_1175
.LBB3_1257:
	s_branch .LBB3_1285
.LBB3_1258:
                                        ; implicit-def: $vgpr6_vgpr7
	s_cbranch_execz .LBB3_1285
; %bb.1259:
	v_readfirstlane_b32 s4, v51
	v_mov_b32_e32 v10, 0
	v_mov_b32_e32 v11, 0
	v_cmp_eq_u32_e64 s[4:5], s4, v51
	s_and_saveexec_b64 s[10:11], s[4:5]
	s_cbranch_execz .LBB3_1265
; %bb.1260:
	v_mov_b32_e32 v2, 0
	global_load_dwordx2 v[8:9], v2, s[44:45] offset:24 glc
	s_waitcnt vmcnt(0)
	buffer_wbinvl1_vol
	global_load_dwordx2 v[6:7], v2, s[44:45] offset:40
	global_load_dwordx2 v[10:11], v2, s[44:45]
	s_waitcnt vmcnt(1)
	v_and_b32_e32 v3, v6, v8
	v_and_b32_e32 v6, v7, v9
	v_mul_lo_u32 v6, v6, 24
	v_mul_hi_u32 v7, v3, 24
	v_mul_lo_u32 v3, v3, 24
	v_add_u32_e32 v7, v7, v6
	s_waitcnt vmcnt(0)
	v_add_co_u32_e32 v6, vcc, v10, v3
	v_addc_co_u32_e32 v7, vcc, v11, v7, vcc
	global_load_dwordx2 v[6:7], v[6:7], off glc
	s_waitcnt vmcnt(0)
	global_atomic_cmpswap_x2 v[10:11], v2, v[6:9], s[44:45] offset:24 glc
	s_waitcnt vmcnt(0)
	buffer_wbinvl1_vol
	v_cmp_ne_u64_e32 vcc, v[10:11], v[8:9]
	s_and_saveexec_b64 s[16:17], vcc
	s_cbranch_execz .LBB3_1264
; %bb.1261:
	s_mov_b64 s[18:19], 0
.LBB3_1262:                             ; =>This Inner Loop Header: Depth=1
	s_sleep 1
	global_load_dwordx2 v[6:7], v2, s[44:45] offset:40
	global_load_dwordx2 v[12:13], v2, s[44:45]
	v_mov_b32_e32 v8, v10
	v_mov_b32_e32 v9, v11
	s_waitcnt vmcnt(1)
	v_and_b32_e32 v3, v6, v8
	s_waitcnt vmcnt(0)
	v_mad_u64_u32 v[10:11], s[20:21], v3, 24, v[12:13]
	v_and_b32_e32 v6, v7, v9
	v_mov_b32_e32 v3, v11
	v_mad_u64_u32 v[6:7], s[20:21], v6, 24, v[3:4]
	v_mov_b32_e32 v11, v6
	global_load_dwordx2 v[6:7], v[10:11], off glc
	s_waitcnt vmcnt(0)
	global_atomic_cmpswap_x2 v[10:11], v2, v[6:9], s[44:45] offset:24 glc
	s_waitcnt vmcnt(0)
	buffer_wbinvl1_vol
	v_cmp_eq_u64_e32 vcc, v[10:11], v[8:9]
	s_or_b64 s[18:19], vcc, s[18:19]
	s_andn2_b64 exec, exec, s[18:19]
	s_cbranch_execnz .LBB3_1262
; %bb.1263:
	s_or_b64 exec, exec, s[18:19]
.LBB3_1264:
	s_or_b64 exec, exec, s[16:17]
.LBB3_1265:
	s_or_b64 exec, exec, s[10:11]
	v_mov_b32_e32 v2, 0
	global_load_dwordx2 v[12:13], v2, s[44:45] offset:40
	global_load_dwordx4 v[6:9], v2, s[44:45]
	v_readfirstlane_b32 s10, v10
	v_readfirstlane_b32 s11, v11
	s_mov_b64 s[16:17], exec
	s_waitcnt vmcnt(1)
	v_readfirstlane_b32 s18, v12
	v_readfirstlane_b32 s19, v13
	s_and_b64 s[18:19], s[10:11], s[18:19]
	s_mul_i32 s15, s19, 24
	s_mul_hi_u32 s20, s18, 24
	s_mul_i32 s21, s18, 24
	s_add_i32 s15, s20, s15
	v_mov_b32_e32 v3, s15
	s_waitcnt vmcnt(0)
	v_add_co_u32_e32 v10, vcc, s21, v6
	v_addc_co_u32_e32 v11, vcc, v7, v3, vcc
	s_and_saveexec_b64 s[20:21], s[4:5]
	s_cbranch_execz .LBB3_1267
; %bb.1266:
	v_mov_b32_e32 v12, s16
	v_mov_b32_e32 v13, s17
	;; [unrolled: 1-line block ×4, first 2 shown]
	global_store_dwordx4 v[10:11], v[12:15], off offset:8
.LBB3_1267:
	s_or_b64 exec, exec, s[20:21]
	s_lshl_b64 s[16:17], s[18:19], 12
	v_mov_b32_e32 v3, s17
	v_add_co_u32_e32 v12, vcc, s16, v8
	v_addc_co_u32_e32 v13, vcc, v9, v3, vcc
	s_movk_i32 s15, 0xff1f
	v_and_or_b32 v0, v0, s15, 32
	s_mov_b32 s16, 0
	v_mov_b32_e32 v3, v2
	v_readfirstlane_b32 s20, v12
	v_readfirstlane_b32 s21, v13
	v_add_co_u32_e32 v8, vcc, v12, v50
	s_mov_b32 s17, s16
	s_mov_b32 s18, s16
	;; [unrolled: 1-line block ×3, first 2 shown]
	s_nop 0
	global_store_dwordx4 v50, v[0:3], s[20:21]
	v_addc_co_u32_e32 v9, vcc, 0, v13, vcc
	v_mov_b32_e32 v0, s16
	v_mov_b32_e32 v1, s17
	;; [unrolled: 1-line block ×4, first 2 shown]
	global_store_dwordx4 v50, v[0:3], s[20:21] offset:16
	global_store_dwordx4 v50, v[0:3], s[20:21] offset:32
	;; [unrolled: 1-line block ×3, first 2 shown]
	s_and_saveexec_b64 s[16:17], s[4:5]
	s_cbranch_execz .LBB3_1275
; %bb.1268:
	v_mov_b32_e32 v12, 0
	global_load_dwordx2 v[15:16], v12, s[44:45] offset:32 glc
	global_load_dwordx2 v[0:1], v12, s[44:45] offset:40
	v_mov_b32_e32 v13, s10
	v_mov_b32_e32 v14, s11
	s_waitcnt vmcnt(0)
	v_readfirstlane_b32 s18, v0
	v_readfirstlane_b32 s19, v1
	s_and_b64 s[18:19], s[18:19], s[10:11]
	s_mul_i32 s15, s19, 24
	s_mul_hi_u32 s19, s18, 24
	s_mul_i32 s18, s18, 24
	s_add_i32 s15, s19, s15
	v_mov_b32_e32 v0, s15
	v_add_co_u32_e32 v6, vcc, s18, v6
	v_addc_co_u32_e32 v7, vcc, v7, v0, vcc
	global_store_dwordx2 v[6:7], v[15:16], off
	s_waitcnt vmcnt(0)
	global_atomic_cmpswap_x2 v[2:3], v12, v[13:16], s[44:45] offset:32 glc
	s_waitcnt vmcnt(0)
	v_cmp_ne_u64_e32 vcc, v[2:3], v[15:16]
	s_and_saveexec_b64 s[18:19], vcc
	s_cbranch_execz .LBB3_1271
; %bb.1269:
	s_mov_b64 s[20:21], 0
.LBB3_1270:                             ; =>This Inner Loop Header: Depth=1
	s_sleep 1
	global_store_dwordx2 v[6:7], v[2:3], off
	v_mov_b32_e32 v0, s10
	v_mov_b32_e32 v1, s11
	s_waitcnt vmcnt(0)
	global_atomic_cmpswap_x2 v[0:1], v12, v[0:3], s[44:45] offset:32 glc
	s_waitcnt vmcnt(0)
	v_cmp_eq_u64_e32 vcc, v[0:1], v[2:3]
	v_mov_b32_e32 v3, v1
	s_or_b64 s[20:21], vcc, s[20:21]
	v_mov_b32_e32 v2, v0
	s_andn2_b64 exec, exec, s[20:21]
	s_cbranch_execnz .LBB3_1270
.LBB3_1271:
	s_or_b64 exec, exec, s[18:19]
	v_mov_b32_e32 v3, 0
	global_load_dwordx2 v[0:1], v3, s[44:45] offset:16
	s_mov_b64 s[18:19], exec
	v_mbcnt_lo_u32_b32 v2, s18, 0
	v_mbcnt_hi_u32_b32 v2, s19, v2
	v_cmp_eq_u32_e32 vcc, 0, v2
	s_and_saveexec_b64 s[20:21], vcc
	s_cbranch_execz .LBB3_1273
; %bb.1272:
	s_bcnt1_i32_b64 s15, s[18:19]
	v_mov_b32_e32 v2, s15
	s_waitcnt vmcnt(0)
	global_atomic_add_x2 v[0:1], v[2:3], off offset:8
.LBB3_1273:
	s_or_b64 exec, exec, s[20:21]
	s_waitcnt vmcnt(0)
	global_load_dwordx2 v[2:3], v[0:1], off offset:16
	s_waitcnt vmcnt(0)
	v_cmp_eq_u64_e32 vcc, 0, v[2:3]
	s_cbranch_vccnz .LBB3_1275
; %bb.1274:
	global_load_dword v0, v[0:1], off offset:24
	v_mov_b32_e32 v1, 0
	s_waitcnt vmcnt(0)
	global_store_dwordx2 v[2:3], v[0:1], off
	v_and_b32_e32 v0, 0xffffff, v0
	v_readfirstlane_b32 m0, v0
	s_sendmsg sendmsg(MSG_INTERRUPT)
.LBB3_1275:
	s_or_b64 exec, exec, s[16:17]
	s_branch .LBB3_1279
.LBB3_1276:                             ;   in Loop: Header=BB3_1279 Depth=1
	s_or_b64 exec, exec, s[16:17]
	v_readfirstlane_b32 s15, v0
	s_cmp_eq_u32 s15, 0
	s_cbranch_scc1 .LBB3_1278
; %bb.1277:                             ;   in Loop: Header=BB3_1279 Depth=1
	s_sleep 1
	s_cbranch_execnz .LBB3_1279
	s_branch .LBB3_1281
.LBB3_1278:
	s_branch .LBB3_1281
.LBB3_1279:                             ; =>This Inner Loop Header: Depth=1
	v_mov_b32_e32 v0, 1
	s_and_saveexec_b64 s[16:17], s[4:5]
	s_cbranch_execz .LBB3_1276
; %bb.1280:                             ;   in Loop: Header=BB3_1279 Depth=1
	global_load_dword v0, v[10:11], off offset:20 glc
	s_waitcnt vmcnt(0)
	buffer_wbinvl1_vol
	v_and_b32_e32 v0, 1, v0
	s_branch .LBB3_1276
.LBB3_1281:
	global_load_dwordx2 v[6:7], v[8:9], off
	s_and_saveexec_b64 s[16:17], s[4:5]
	s_cbranch_execz .LBB3_1284
; %bb.1282:
	v_mov_b32_e32 v10, 0
	global_load_dwordx2 v[2:3], v10, s[44:45] offset:40
	global_load_dwordx2 v[11:12], v10, s[44:45] offset:24 glc
	global_load_dwordx2 v[8:9], v10, s[44:45]
	v_mov_b32_e32 v1, s11
	s_mov_b64 s[4:5], 0
	s_waitcnt vmcnt(2)
	v_add_co_u32_e32 v13, vcc, 1, v2
	v_addc_co_u32_e32 v14, vcc, 0, v3, vcc
	v_add_co_u32_e32 v0, vcc, s10, v13
	v_addc_co_u32_e32 v1, vcc, v14, v1, vcc
	v_cmp_eq_u64_e32 vcc, 0, v[0:1]
	v_cndmask_b32_e32 v1, v1, v14, vcc
	v_cndmask_b32_e32 v0, v0, v13, vcc
	v_and_b32_e32 v3, v1, v3
	v_and_b32_e32 v2, v0, v2
	v_mul_lo_u32 v3, v3, 24
	v_mul_hi_u32 v13, v2, 24
	v_mul_lo_u32 v14, v2, 24
	s_waitcnt vmcnt(1)
	v_mov_b32_e32 v2, v11
	v_add_u32_e32 v3, v13, v3
	s_waitcnt vmcnt(0)
	v_add_co_u32_e32 v8, vcc, v8, v14
	v_addc_co_u32_e32 v9, vcc, v9, v3, vcc
	global_store_dwordx2 v[8:9], v[11:12], off
	v_mov_b32_e32 v3, v12
	s_waitcnt vmcnt(0)
	global_atomic_cmpswap_x2 v[2:3], v10, v[0:3], s[44:45] offset:24 glc
	s_waitcnt vmcnt(0)
	v_cmp_ne_u64_e32 vcc, v[2:3], v[11:12]
	s_and_b64 exec, exec, vcc
	s_cbranch_execz .LBB3_1284
.LBB3_1283:                             ; =>This Inner Loop Header: Depth=1
	s_sleep 1
	global_store_dwordx2 v[8:9], v[2:3], off
	s_waitcnt vmcnt(0)
	global_atomic_cmpswap_x2 v[11:12], v10, v[0:3], s[44:45] offset:24 glc
	s_waitcnt vmcnt(0)
	v_cmp_eq_u64_e32 vcc, v[11:12], v[2:3]
	v_mov_b32_e32 v2, v11
	s_or_b64 s[4:5], vcc, s[4:5]
	v_mov_b32_e32 v3, v12
	s_andn2_b64 exec, exec, s[4:5]
	s_cbranch_execnz .LBB3_1283
.LBB3_1284:
	s_or_b64 exec, exec, s[16:17]
.LBB3_1285:
	v_readfirstlane_b32 s4, v51
	v_mov_b32_e32 v10, 0
	v_mov_b32_e32 v11, 0
	v_cmp_eq_u32_e64 s[4:5], s4, v51
	s_and_saveexec_b64 s[10:11], s[4:5]
	s_cbranch_execz .LBB3_1291
; %bb.1286:
	s_waitcnt vmcnt(0)
	v_mov_b32_e32 v0, 0
	global_load_dwordx2 v[12:13], v0, s[44:45] offset:24 glc
	s_waitcnt vmcnt(0)
	buffer_wbinvl1_vol
	global_load_dwordx2 v[1:2], v0, s[44:45] offset:40
	global_load_dwordx2 v[8:9], v0, s[44:45]
	s_waitcnt vmcnt(1)
	v_and_b32_e32 v1, v1, v12
	v_and_b32_e32 v2, v2, v13
	v_mul_lo_u32 v2, v2, 24
	v_mul_hi_u32 v3, v1, 24
	v_mul_lo_u32 v1, v1, 24
	v_add_u32_e32 v2, v3, v2
	s_waitcnt vmcnt(0)
	v_add_co_u32_e32 v1, vcc, v8, v1
	v_addc_co_u32_e32 v2, vcc, v9, v2, vcc
	global_load_dwordx2 v[10:11], v[1:2], off glc
	s_waitcnt vmcnt(0)
	global_atomic_cmpswap_x2 v[10:11], v0, v[10:13], s[44:45] offset:24 glc
	s_waitcnt vmcnt(0)
	buffer_wbinvl1_vol
	v_cmp_ne_u64_e32 vcc, v[10:11], v[12:13]
	s_and_saveexec_b64 s[16:17], vcc
	s_cbranch_execz .LBB3_1290
; %bb.1287:
	s_mov_b64 s[18:19], 0
.LBB3_1288:                             ; =>This Inner Loop Header: Depth=1
	s_sleep 1
	global_load_dwordx2 v[1:2], v0, s[44:45] offset:40
	global_load_dwordx2 v[8:9], v0, s[44:45]
	v_mov_b32_e32 v13, v11
	v_mov_b32_e32 v12, v10
	s_waitcnt vmcnt(1)
	v_and_b32_e32 v1, v1, v12
	s_waitcnt vmcnt(0)
	v_mad_u64_u32 v[8:9], s[20:21], v1, 24, v[8:9]
	v_and_b32_e32 v2, v2, v13
	v_mov_b32_e32 v1, v9
	v_mad_u64_u32 v[1:2], s[20:21], v2, 24, v[1:2]
	v_mov_b32_e32 v9, v1
	global_load_dwordx2 v[10:11], v[8:9], off glc
	s_waitcnt vmcnt(0)
	global_atomic_cmpswap_x2 v[10:11], v0, v[10:13], s[44:45] offset:24 glc
	s_waitcnt vmcnt(0)
	buffer_wbinvl1_vol
	v_cmp_eq_u64_e32 vcc, v[10:11], v[12:13]
	s_or_b64 s[18:19], vcc, s[18:19]
	s_andn2_b64 exec, exec, s[18:19]
	s_cbranch_execnz .LBB3_1288
; %bb.1289:
	s_or_b64 exec, exec, s[18:19]
.LBB3_1290:
	s_or_b64 exec, exec, s[16:17]
.LBB3_1291:
	s_or_b64 exec, exec, s[10:11]
	s_waitcnt vmcnt(0)
	v_mov_b32_e32 v9, 0
	global_load_dwordx2 v[12:13], v9, s[44:45] offset:40
	global_load_dwordx4 v[0:3], v9, s[44:45]
	v_readfirstlane_b32 s10, v10
	v_readfirstlane_b32 s11, v11
	s_mov_b64 s[16:17], exec
	s_waitcnt vmcnt(1)
	v_readfirstlane_b32 s18, v12
	v_readfirstlane_b32 s19, v13
	s_and_b64 s[18:19], s[10:11], s[18:19]
	s_mul_i32 s15, s19, 24
	s_mul_hi_u32 s20, s18, 24
	s_mul_i32 s21, s18, 24
	s_add_i32 s15, s20, s15
	v_mov_b32_e32 v8, s15
	s_waitcnt vmcnt(0)
	v_add_co_u32_e32 v10, vcc, s21, v0
	v_addc_co_u32_e32 v11, vcc, v1, v8, vcc
	s_and_saveexec_b64 s[20:21], s[4:5]
	s_cbranch_execz .LBB3_1293
; %bb.1292:
	v_mov_b32_e32 v12, s16
	v_mov_b32_e32 v13, s17
	v_mov_b32_e32 v14, 2
	v_mov_b32_e32 v15, 1
	global_store_dwordx4 v[10:11], v[12:15], off offset:8
.LBB3_1293:
	s_or_b64 exec, exec, s[20:21]
	s_lshl_b64 s[16:17], s[18:19], 12
	v_mov_b32_e32 v8, s17
	v_add_co_u32_e32 v2, vcc, s16, v2
	v_addc_co_u32_e32 v3, vcc, v3, v8, vcc
	s_movk_i32 s15, 0xff1d
	v_and_or_b32 v6, v6, s15, 34
	s_mov_b32 s16, 0
	v_mov_b32_e32 v8, 10
	v_readfirstlane_b32 s20, v2
	v_readfirstlane_b32 s21, v3
	s_mov_b32 s17, s16
	s_mov_b32 s18, s16
	;; [unrolled: 1-line block ×3, first 2 shown]
	s_nop 1
	global_store_dwordx4 v50, v[6:9], s[20:21]
	s_nop 0
	v_mov_b32_e32 v6, s16
	v_mov_b32_e32 v7, s17
	;; [unrolled: 1-line block ×4, first 2 shown]
	global_store_dwordx4 v50, v[6:9], s[20:21] offset:16
	global_store_dwordx4 v50, v[6:9], s[20:21] offset:32
	;; [unrolled: 1-line block ×3, first 2 shown]
	s_and_saveexec_b64 s[16:17], s[4:5]
	s_cbranch_execz .LBB3_1301
; %bb.1294:
	v_mov_b32_e32 v8, 0
	global_load_dwordx2 v[14:15], v8, s[44:45] offset:32 glc
	global_load_dwordx2 v[2:3], v8, s[44:45] offset:40
	v_mov_b32_e32 v12, s10
	v_mov_b32_e32 v13, s11
	s_waitcnt vmcnt(0)
	v_readfirstlane_b32 s18, v2
	v_readfirstlane_b32 s19, v3
	s_and_b64 s[18:19], s[18:19], s[10:11]
	s_mul_i32 s15, s19, 24
	s_mul_hi_u32 s19, s18, 24
	s_mul_i32 s18, s18, 24
	s_add_i32 s15, s19, s15
	v_mov_b32_e32 v2, s15
	v_add_co_u32_e32 v6, vcc, s18, v0
	v_addc_co_u32_e32 v7, vcc, v1, v2, vcc
	global_store_dwordx2 v[6:7], v[14:15], off
	s_waitcnt vmcnt(0)
	global_atomic_cmpswap_x2 v[2:3], v8, v[12:15], s[44:45] offset:32 glc
	s_waitcnt vmcnt(0)
	v_cmp_ne_u64_e32 vcc, v[2:3], v[14:15]
	s_and_saveexec_b64 s[18:19], vcc
	s_cbranch_execz .LBB3_1297
; %bb.1295:
	s_mov_b64 s[20:21], 0
.LBB3_1296:                             ; =>This Inner Loop Header: Depth=1
	s_sleep 1
	global_store_dwordx2 v[6:7], v[2:3], off
	v_mov_b32_e32 v0, s10
	v_mov_b32_e32 v1, s11
	s_waitcnt vmcnt(0)
	global_atomic_cmpswap_x2 v[0:1], v8, v[0:3], s[44:45] offset:32 glc
	s_waitcnt vmcnt(0)
	v_cmp_eq_u64_e32 vcc, v[0:1], v[2:3]
	v_mov_b32_e32 v3, v1
	s_or_b64 s[20:21], vcc, s[20:21]
	v_mov_b32_e32 v2, v0
	s_andn2_b64 exec, exec, s[20:21]
	s_cbranch_execnz .LBB3_1296
.LBB3_1297:
	s_or_b64 exec, exec, s[18:19]
	v_mov_b32_e32 v3, 0
	global_load_dwordx2 v[0:1], v3, s[44:45] offset:16
	s_mov_b64 s[18:19], exec
	v_mbcnt_lo_u32_b32 v2, s18, 0
	v_mbcnt_hi_u32_b32 v2, s19, v2
	v_cmp_eq_u32_e32 vcc, 0, v2
	s_and_saveexec_b64 s[20:21], vcc
	s_cbranch_execz .LBB3_1299
; %bb.1298:
	s_bcnt1_i32_b64 s15, s[18:19]
	v_mov_b32_e32 v2, s15
	s_waitcnt vmcnt(0)
	global_atomic_add_x2 v[0:1], v[2:3], off offset:8
.LBB3_1299:
	s_or_b64 exec, exec, s[20:21]
	s_waitcnt vmcnt(0)
	global_load_dwordx2 v[2:3], v[0:1], off offset:16
	s_waitcnt vmcnt(0)
	v_cmp_eq_u64_e32 vcc, 0, v[2:3]
	s_cbranch_vccnz .LBB3_1301
; %bb.1300:
	global_load_dword v0, v[0:1], off offset:24
	v_mov_b32_e32 v1, 0
	s_waitcnt vmcnt(0)
	global_store_dwordx2 v[2:3], v[0:1], off
	v_and_b32_e32 v0, 0xffffff, v0
	v_readfirstlane_b32 m0, v0
	s_sendmsg sendmsg(MSG_INTERRUPT)
.LBB3_1301:
	s_or_b64 exec, exec, s[16:17]
	s_branch .LBB3_1305
.LBB3_1302:                             ;   in Loop: Header=BB3_1305 Depth=1
	s_or_b64 exec, exec, s[16:17]
	v_readfirstlane_b32 s15, v0
	s_cmp_eq_u32 s15, 0
	s_cbranch_scc1 .LBB3_1304
; %bb.1303:                             ;   in Loop: Header=BB3_1305 Depth=1
	s_sleep 1
	s_cbranch_execnz .LBB3_1305
	s_branch .LBB3_1307
.LBB3_1304:
	s_branch .LBB3_1307
.LBB3_1305:                             ; =>This Inner Loop Header: Depth=1
	v_mov_b32_e32 v0, 1
	s_and_saveexec_b64 s[16:17], s[4:5]
	s_cbranch_execz .LBB3_1302
; %bb.1306:                             ;   in Loop: Header=BB3_1305 Depth=1
	global_load_dword v0, v[10:11], off offset:20 glc
	s_waitcnt vmcnt(0)
	buffer_wbinvl1_vol
	v_and_b32_e32 v0, 1, v0
	s_branch .LBB3_1302
.LBB3_1307:
	s_and_saveexec_b64 s[16:17], s[4:5]
	s_cbranch_execz .LBB3_1310
; %bb.1308:
	v_mov_b32_e32 v8, 0
	global_load_dwordx2 v[2:3], v8, s[44:45] offset:40
	global_load_dwordx2 v[9:10], v8, s[44:45] offset:24 glc
	global_load_dwordx2 v[6:7], v8, s[44:45]
	v_mov_b32_e32 v1, s11
	s_mov_b64 s[4:5], 0
	s_waitcnt vmcnt(2)
	v_add_co_u32_e32 v11, vcc, 1, v2
	v_addc_co_u32_e32 v12, vcc, 0, v3, vcc
	v_add_co_u32_e32 v0, vcc, s10, v11
	v_addc_co_u32_e32 v1, vcc, v12, v1, vcc
	v_cmp_eq_u64_e32 vcc, 0, v[0:1]
	v_cndmask_b32_e32 v1, v1, v12, vcc
	v_cndmask_b32_e32 v0, v0, v11, vcc
	v_and_b32_e32 v3, v1, v3
	v_and_b32_e32 v2, v0, v2
	v_mul_lo_u32 v3, v3, 24
	v_mul_hi_u32 v11, v2, 24
	v_mul_lo_u32 v12, v2, 24
	s_waitcnt vmcnt(1)
	v_mov_b32_e32 v2, v9
	v_add_u32_e32 v3, v11, v3
	s_waitcnt vmcnt(0)
	v_add_co_u32_e32 v6, vcc, v6, v12
	v_addc_co_u32_e32 v7, vcc, v7, v3, vcc
	global_store_dwordx2 v[6:7], v[9:10], off
	v_mov_b32_e32 v3, v10
	s_waitcnt vmcnt(0)
	global_atomic_cmpswap_x2 v[2:3], v8, v[0:3], s[44:45] offset:24 glc
	s_waitcnt vmcnt(0)
	v_cmp_ne_u64_e32 vcc, v[2:3], v[9:10]
	s_and_b64 exec, exec, vcc
	s_cbranch_execz .LBB3_1310
.LBB3_1309:                             ; =>This Inner Loop Header: Depth=1
	s_sleep 1
	global_store_dwordx2 v[6:7], v[2:3], off
	s_waitcnt vmcnt(0)
	global_atomic_cmpswap_x2 v[9:10], v8, v[0:3], s[44:45] offset:24 glc
	s_waitcnt vmcnt(0)
	v_cmp_eq_u64_e32 vcc, v[9:10], v[2:3]
	v_mov_b32_e32 v2, v9
	s_or_b64 s[4:5], vcc, s[4:5]
	v_mov_b32_e32 v3, v10
	s_andn2_b64 exec, exec, s[4:5]
	s_cbranch_execnz .LBB3_1309
.LBB3_1310:
	s_or_b64 exec, exec, s[16:17]
	v_readfirstlane_b32 s4, v51
	v_mov_b32_e32 v8, 0
	v_mov_b32_e32 v9, 0
	v_cmp_eq_u32_e64 s[4:5], s4, v51
	s_and_saveexec_b64 s[10:11], s[4:5]
	s_cbranch_execz .LBB3_1316
; %bb.1311:
	v_mov_b32_e32 v0, 0
	global_load_dwordx2 v[10:11], v0, s[44:45] offset:24 glc
	s_waitcnt vmcnt(0)
	buffer_wbinvl1_vol
	global_load_dwordx2 v[1:2], v0, s[44:45] offset:40
	global_load_dwordx2 v[6:7], v0, s[44:45]
	s_waitcnt vmcnt(1)
	v_and_b32_e32 v1, v1, v10
	v_and_b32_e32 v2, v2, v11
	v_mul_lo_u32 v2, v2, 24
	v_mul_hi_u32 v3, v1, 24
	v_mul_lo_u32 v1, v1, 24
	v_add_u32_e32 v2, v3, v2
	s_waitcnt vmcnt(0)
	v_add_co_u32_e32 v1, vcc, v6, v1
	v_addc_co_u32_e32 v2, vcc, v7, v2, vcc
	global_load_dwordx2 v[8:9], v[1:2], off glc
	s_waitcnt vmcnt(0)
	global_atomic_cmpswap_x2 v[8:9], v0, v[8:11], s[44:45] offset:24 glc
	s_waitcnt vmcnt(0)
	buffer_wbinvl1_vol
	v_cmp_ne_u64_e32 vcc, v[8:9], v[10:11]
	s_and_saveexec_b64 s[16:17], vcc
	s_cbranch_execz .LBB3_1315
; %bb.1312:
	s_mov_b64 s[18:19], 0
.LBB3_1313:                             ; =>This Inner Loop Header: Depth=1
	s_sleep 1
	global_load_dwordx2 v[1:2], v0, s[44:45] offset:40
	global_load_dwordx2 v[6:7], v0, s[44:45]
	v_mov_b32_e32 v11, v9
	v_mov_b32_e32 v10, v8
	s_waitcnt vmcnt(1)
	v_and_b32_e32 v1, v1, v10
	s_waitcnt vmcnt(0)
	v_mad_u64_u32 v[6:7], s[20:21], v1, 24, v[6:7]
	v_and_b32_e32 v2, v2, v11
	v_mov_b32_e32 v1, v7
	v_mad_u64_u32 v[1:2], s[20:21], v2, 24, v[1:2]
	v_mov_b32_e32 v7, v1
	global_load_dwordx2 v[8:9], v[6:7], off glc
	s_waitcnt vmcnt(0)
	global_atomic_cmpswap_x2 v[8:9], v0, v[8:11], s[44:45] offset:24 glc
	s_waitcnt vmcnt(0)
	buffer_wbinvl1_vol
	v_cmp_eq_u64_e32 vcc, v[8:9], v[10:11]
	s_or_b64 s[18:19], vcc, s[18:19]
	s_andn2_b64 exec, exec, s[18:19]
	s_cbranch_execnz .LBB3_1313
; %bb.1314:
	s_or_b64 exec, exec, s[18:19]
.LBB3_1315:
	s_or_b64 exec, exec, s[16:17]
.LBB3_1316:
	s_or_b64 exec, exec, s[10:11]
	v_mov_b32_e32 v7, 0
	global_load_dwordx2 v[10:11], v7, s[44:45] offset:40
	global_load_dwordx4 v[0:3], v7, s[44:45]
	v_readfirstlane_b32 s10, v8
	v_readfirstlane_b32 s11, v9
	s_mov_b64 s[16:17], exec
	s_waitcnt vmcnt(1)
	v_readfirstlane_b32 s18, v10
	v_readfirstlane_b32 s19, v11
	s_and_b64 s[18:19], s[10:11], s[18:19]
	s_mul_i32 s15, s19, 24
	s_mul_hi_u32 s20, s18, 24
	s_mul_i32 s21, s18, 24
	s_add_i32 s15, s20, s15
	v_mov_b32_e32 v6, s15
	s_waitcnt vmcnt(0)
	v_add_co_u32_e32 v10, vcc, s21, v0
	v_addc_co_u32_e32 v11, vcc, v1, v6, vcc
	s_and_saveexec_b64 s[20:21], s[4:5]
	s_cbranch_execz .LBB3_1318
; %bb.1317:
	v_mov_b32_e32 v12, s16
	v_mov_b32_e32 v13, s17
	;; [unrolled: 1-line block ×4, first 2 shown]
	global_store_dwordx4 v[10:11], v[12:15], off offset:8
.LBB3_1318:
	s_or_b64 exec, exec, s[20:21]
	s_lshl_b64 s[16:17], s[18:19], 12
	v_mov_b32_e32 v6, s17
	v_add_co_u32_e32 v2, vcc, s16, v2
	v_addc_co_u32_e32 v3, vcc, v3, v6, vcc
	s_mov_b32 s16, 0
	v_mov_b32_e32 v6, 33
	v_mov_b32_e32 v8, v7
	;; [unrolled: 1-line block ×3, first 2 shown]
	v_readfirstlane_b32 s20, v2
	v_readfirstlane_b32 s21, v3
	v_add_co_u32_e32 v12, vcc, v2, v50
	s_mov_b32 s17, s16
	s_mov_b32 s18, s16
	;; [unrolled: 1-line block ×3, first 2 shown]
	s_nop 0
	global_store_dwordx4 v50, v[6:9], s[20:21]
	v_addc_co_u32_e32 v13, vcc, 0, v3, vcc
	v_mov_b32_e32 v6, s16
	v_mov_b32_e32 v7, s17
	;; [unrolled: 1-line block ×4, first 2 shown]
	global_store_dwordx4 v50, v[6:9], s[20:21] offset:16
	global_store_dwordx4 v50, v[6:9], s[20:21] offset:32
	;; [unrolled: 1-line block ×3, first 2 shown]
	s_and_saveexec_b64 s[16:17], s[4:5]
	s_cbranch_execz .LBB3_1326
; %bb.1319:
	v_mov_b32_e32 v8, 0
	global_load_dwordx2 v[16:17], v8, s[44:45] offset:32 glc
	global_load_dwordx2 v[2:3], v8, s[44:45] offset:40
	v_mov_b32_e32 v14, s10
	v_mov_b32_e32 v15, s11
	s_waitcnt vmcnt(0)
	v_readfirstlane_b32 s18, v2
	v_readfirstlane_b32 s19, v3
	s_and_b64 s[18:19], s[18:19], s[10:11]
	s_mul_i32 s15, s19, 24
	s_mul_hi_u32 s19, s18, 24
	s_mul_i32 s18, s18, 24
	s_add_i32 s15, s19, s15
	v_mov_b32_e32 v2, s15
	v_add_co_u32_e32 v6, vcc, s18, v0
	v_addc_co_u32_e32 v7, vcc, v1, v2, vcc
	global_store_dwordx2 v[6:7], v[16:17], off
	s_waitcnt vmcnt(0)
	global_atomic_cmpswap_x2 v[2:3], v8, v[14:17], s[44:45] offset:32 glc
	s_waitcnt vmcnt(0)
	v_cmp_ne_u64_e32 vcc, v[2:3], v[16:17]
	s_and_saveexec_b64 s[18:19], vcc
	s_cbranch_execz .LBB3_1322
; %bb.1320:
	s_mov_b64 s[20:21], 0
.LBB3_1321:                             ; =>This Inner Loop Header: Depth=1
	s_sleep 1
	global_store_dwordx2 v[6:7], v[2:3], off
	v_mov_b32_e32 v0, s10
	v_mov_b32_e32 v1, s11
	s_waitcnt vmcnt(0)
	global_atomic_cmpswap_x2 v[0:1], v8, v[0:3], s[44:45] offset:32 glc
	s_waitcnt vmcnt(0)
	v_cmp_eq_u64_e32 vcc, v[0:1], v[2:3]
	v_mov_b32_e32 v3, v1
	s_or_b64 s[20:21], vcc, s[20:21]
	v_mov_b32_e32 v2, v0
	s_andn2_b64 exec, exec, s[20:21]
	s_cbranch_execnz .LBB3_1321
.LBB3_1322:
	s_or_b64 exec, exec, s[18:19]
	v_mov_b32_e32 v3, 0
	global_load_dwordx2 v[0:1], v3, s[44:45] offset:16
	s_mov_b64 s[18:19], exec
	v_mbcnt_lo_u32_b32 v2, s18, 0
	v_mbcnt_hi_u32_b32 v2, s19, v2
	v_cmp_eq_u32_e32 vcc, 0, v2
	s_and_saveexec_b64 s[20:21], vcc
	s_cbranch_execz .LBB3_1324
; %bb.1323:
	s_bcnt1_i32_b64 s15, s[18:19]
	v_mov_b32_e32 v2, s15
	s_waitcnt vmcnt(0)
	global_atomic_add_x2 v[0:1], v[2:3], off offset:8
.LBB3_1324:
	s_or_b64 exec, exec, s[20:21]
	s_waitcnt vmcnt(0)
	global_load_dwordx2 v[2:3], v[0:1], off offset:16
	s_waitcnt vmcnt(0)
	v_cmp_eq_u64_e32 vcc, 0, v[2:3]
	s_cbranch_vccnz .LBB3_1326
; %bb.1325:
	global_load_dword v0, v[0:1], off offset:24
	v_mov_b32_e32 v1, 0
	s_waitcnt vmcnt(0)
	global_store_dwordx2 v[2:3], v[0:1], off
	v_and_b32_e32 v0, 0xffffff, v0
	v_readfirstlane_b32 m0, v0
	s_sendmsg sendmsg(MSG_INTERRUPT)
.LBB3_1326:
	s_or_b64 exec, exec, s[16:17]
	s_branch .LBB3_1330
.LBB3_1327:                             ;   in Loop: Header=BB3_1330 Depth=1
	s_or_b64 exec, exec, s[16:17]
	v_readfirstlane_b32 s15, v0
	s_cmp_eq_u32 s15, 0
	s_cbranch_scc1 .LBB3_1329
; %bb.1328:                             ;   in Loop: Header=BB3_1330 Depth=1
	s_sleep 1
	s_cbranch_execnz .LBB3_1330
	s_branch .LBB3_1332
.LBB3_1329:
	s_branch .LBB3_1332
.LBB3_1330:                             ; =>This Inner Loop Header: Depth=1
	v_mov_b32_e32 v0, 1
	s_and_saveexec_b64 s[16:17], s[4:5]
	s_cbranch_execz .LBB3_1327
; %bb.1331:                             ;   in Loop: Header=BB3_1330 Depth=1
	global_load_dword v0, v[10:11], off offset:20 glc
	s_waitcnt vmcnt(0)
	buffer_wbinvl1_vol
	v_and_b32_e32 v0, 1, v0
	s_branch .LBB3_1327
.LBB3_1332:
	global_load_dwordx2 v[6:7], v[12:13], off
	s_and_saveexec_b64 s[16:17], s[4:5]
	s_cbranch_execz .LBB3_1335
; %bb.1333:
	v_mov_b32_e32 v10, 0
	global_load_dwordx2 v[2:3], v10, s[44:45] offset:40
	global_load_dwordx2 v[11:12], v10, s[44:45] offset:24 glc
	global_load_dwordx2 v[8:9], v10, s[44:45]
	v_mov_b32_e32 v1, s11
	s_mov_b64 s[4:5], 0
	s_waitcnt vmcnt(2)
	v_add_co_u32_e32 v13, vcc, 1, v2
	v_addc_co_u32_e32 v14, vcc, 0, v3, vcc
	v_add_co_u32_e32 v0, vcc, s10, v13
	v_addc_co_u32_e32 v1, vcc, v14, v1, vcc
	v_cmp_eq_u64_e32 vcc, 0, v[0:1]
	v_cndmask_b32_e32 v1, v1, v14, vcc
	v_cndmask_b32_e32 v0, v0, v13, vcc
	v_and_b32_e32 v3, v1, v3
	v_and_b32_e32 v2, v0, v2
	v_mul_lo_u32 v3, v3, 24
	v_mul_hi_u32 v13, v2, 24
	v_mul_lo_u32 v14, v2, 24
	s_waitcnt vmcnt(1)
	v_mov_b32_e32 v2, v11
	v_add_u32_e32 v3, v13, v3
	s_waitcnt vmcnt(0)
	v_add_co_u32_e32 v8, vcc, v8, v14
	v_addc_co_u32_e32 v9, vcc, v9, v3, vcc
	global_store_dwordx2 v[8:9], v[11:12], off
	v_mov_b32_e32 v3, v12
	s_waitcnt vmcnt(0)
	global_atomic_cmpswap_x2 v[2:3], v10, v[0:3], s[44:45] offset:24 glc
	s_waitcnt vmcnt(0)
	v_cmp_ne_u64_e32 vcc, v[2:3], v[11:12]
	s_and_b64 exec, exec, vcc
	s_cbranch_execz .LBB3_1335
.LBB3_1334:                             ; =>This Inner Loop Header: Depth=1
	s_sleep 1
	global_store_dwordx2 v[8:9], v[2:3], off
	s_waitcnt vmcnt(0)
	global_atomic_cmpswap_x2 v[11:12], v10, v[0:3], s[44:45] offset:24 glc
	s_waitcnt vmcnt(0)
	v_cmp_eq_u64_e32 vcc, v[11:12], v[2:3]
	v_mov_b32_e32 v2, v11
	s_or_b64 s[4:5], vcc, s[4:5]
	v_mov_b32_e32 v3, v12
	s_andn2_b64 exec, exec, s[4:5]
	s_cbranch_execnz .LBB3_1334
.LBB3_1335:
	s_or_b64 exec, exec, s[16:17]
	s_and_b64 vcc, exec, s[6:7]
	s_cbranch_vccz .LBB3_1420
; %bb.1336:
	s_waitcnt vmcnt(0)
	v_and_b32_e32 v31, 2, v6
	v_mov_b32_e32 v28, 0
	v_and_b32_e32 v0, -3, v6
	v_mov_b32_e32 v1, v7
	s_mov_b64 s[10:11], 3
	v_mov_b32_e32 v10, 2
	v_mov_b32_e32 v11, 1
	s_getpc_b64 s[6:7]
	s_add_u32 s6, s6, .str.5@rel32@lo+4
	s_addc_u32 s7, s7, .str.5@rel32@hi+12
	s_branch .LBB3_1338
.LBB3_1337:                             ;   in Loop: Header=BB3_1338 Depth=1
	s_or_b64 exec, exec, s[20:21]
	s_sub_u32 s10, s10, s16
	s_subb_u32 s11, s11, s17
	s_add_u32 s6, s6, s16
	s_addc_u32 s7, s7, s17
	s_cmp_lg_u64 s[10:11], 0
	s_cbranch_scc0 .LBB3_1419
.LBB3_1338:                             ; =>This Loop Header: Depth=1
                                        ;     Child Loop BB3_1341 Depth 2
                                        ;     Child Loop BB3_1348 Depth 2
	;; [unrolled: 1-line block ×11, first 2 shown]
	v_cmp_lt_u64_e64 s[4:5], s[10:11], 56
	v_cmp_gt_u64_e64 s[18:19], s[10:11], 7
	s_and_b64 s[4:5], s[4:5], exec
	s_cselect_b32 s17, s11, 0
	s_cselect_b32 s16, s10, 56
	s_and_b64 vcc, exec, s[18:19]
	s_cbranch_vccnz .LBB3_1343
; %bb.1339:                             ;   in Loop: Header=BB3_1338 Depth=1
	s_waitcnt vmcnt(0)
	v_mov_b32_e32 v2, 0
	s_cmp_eq_u64 s[10:11], 0
	v_mov_b32_e32 v3, 0
	s_mov_b64 s[4:5], 0
	s_cbranch_scc1 .LBB3_1342
; %bb.1340:                             ;   in Loop: Header=BB3_1338 Depth=1
	v_mov_b32_e32 v2, 0
	s_lshl_b64 s[18:19], s[16:17], 3
	s_mov_b64 s[20:21], 0
	v_mov_b32_e32 v3, 0
	s_mov_b64 s[22:23], s[6:7]
.LBB3_1341:                             ;   Parent Loop BB3_1338 Depth=1
                                        ; =>  This Inner Loop Header: Depth=2
	global_load_ubyte v8, v28, s[22:23]
	s_waitcnt vmcnt(0)
	v_and_b32_e32 v27, 0xffff, v8
	v_lshlrev_b64 v[8:9], s20, v[27:28]
	s_add_u32 s20, s20, 8
	s_addc_u32 s21, s21, 0
	s_add_u32 s22, s22, 1
	s_addc_u32 s23, s23, 0
	v_or_b32_e32 v2, v8, v2
	s_cmp_lg_u32 s18, s20
	v_or_b32_e32 v3, v9, v3
	s_cbranch_scc1 .LBB3_1341
.LBB3_1342:                             ;   in Loop: Header=BB3_1338 Depth=1
	s_mov_b32 s15, 0
	s_andn2_b64 vcc, exec, s[4:5]
	s_mov_b64 s[4:5], s[6:7]
	s_cbranch_vccz .LBB3_1344
	s_branch .LBB3_1345
.LBB3_1343:                             ;   in Loop: Header=BB3_1338 Depth=1
                                        ; implicit-def: $vgpr2_vgpr3
                                        ; implicit-def: $sgpr15
	s_mov_b64 s[4:5], s[6:7]
.LBB3_1344:                             ;   in Loop: Header=BB3_1338 Depth=1
	global_load_dwordx2 v[2:3], v28, s[6:7]
	s_add_i32 s15, s16, -8
	s_add_u32 s4, s6, 8
	s_addc_u32 s5, s7, 0
.LBB3_1345:                             ;   in Loop: Header=BB3_1338 Depth=1
	s_cmp_gt_u32 s15, 7
	s_cbranch_scc1 .LBB3_1349
; %bb.1346:                             ;   in Loop: Header=BB3_1338 Depth=1
	s_cmp_eq_u32 s15, 0
	s_cbranch_scc1 .LBB3_1350
; %bb.1347:                             ;   in Loop: Header=BB3_1338 Depth=1
	v_mov_b32_e32 v12, 0
	s_mov_b64 s[18:19], 0
	v_mov_b32_e32 v13, 0
	s_mov_b64 s[20:21], 0
.LBB3_1348:                             ;   Parent Loop BB3_1338 Depth=1
                                        ; =>  This Inner Loop Header: Depth=2
	s_add_u32 s22, s4, s20
	s_addc_u32 s23, s5, s21
	global_load_ubyte v8, v28, s[22:23]
	s_add_u32 s20, s20, 1
	s_addc_u32 s21, s21, 0
	s_waitcnt vmcnt(0)
	v_and_b32_e32 v27, 0xffff, v8
	v_lshlrev_b64 v[8:9], s18, v[27:28]
	s_add_u32 s18, s18, 8
	s_addc_u32 s19, s19, 0
	v_or_b32_e32 v12, v8, v12
	s_cmp_lg_u32 s15, s20
	v_or_b32_e32 v13, v9, v13
	s_cbranch_scc1 .LBB3_1348
	s_branch .LBB3_1351
.LBB3_1349:                             ;   in Loop: Header=BB3_1338 Depth=1
                                        ; implicit-def: $vgpr12_vgpr13
                                        ; implicit-def: $sgpr22
	s_branch .LBB3_1352
.LBB3_1350:                             ;   in Loop: Header=BB3_1338 Depth=1
	v_mov_b32_e32 v12, 0
	v_mov_b32_e32 v13, 0
.LBB3_1351:                             ;   in Loop: Header=BB3_1338 Depth=1
	s_mov_b32 s22, 0
	s_cbranch_execnz .LBB3_1353
.LBB3_1352:                             ;   in Loop: Header=BB3_1338 Depth=1
	global_load_dwordx2 v[12:13], v28, s[4:5]
	s_add_i32 s22, s15, -8
	s_add_u32 s4, s4, 8
	s_addc_u32 s5, s5, 0
.LBB3_1353:                             ;   in Loop: Header=BB3_1338 Depth=1
	s_cmp_gt_u32 s22, 7
	s_cbranch_scc1 .LBB3_1357
; %bb.1354:                             ;   in Loop: Header=BB3_1338 Depth=1
	s_cmp_eq_u32 s22, 0
	s_cbranch_scc1 .LBB3_1358
; %bb.1355:                             ;   in Loop: Header=BB3_1338 Depth=1
	v_mov_b32_e32 v14, 0
	s_mov_b64 s[18:19], 0
	v_mov_b32_e32 v15, 0
	s_mov_b64 s[20:21], 0
.LBB3_1356:                             ;   Parent Loop BB3_1338 Depth=1
                                        ; =>  This Inner Loop Header: Depth=2
	s_add_u32 s24, s4, s20
	s_addc_u32 s25, s5, s21
	global_load_ubyte v8, v28, s[24:25]
	s_add_u32 s20, s20, 1
	s_addc_u32 s21, s21, 0
	s_waitcnt vmcnt(0)
	v_and_b32_e32 v27, 0xffff, v8
	v_lshlrev_b64 v[8:9], s18, v[27:28]
	s_add_u32 s18, s18, 8
	s_addc_u32 s19, s19, 0
	v_or_b32_e32 v14, v8, v14
	s_cmp_lg_u32 s22, s20
	v_or_b32_e32 v15, v9, v15
	s_cbranch_scc1 .LBB3_1356
	s_branch .LBB3_1359
.LBB3_1357:                             ;   in Loop: Header=BB3_1338 Depth=1
                                        ; implicit-def: $sgpr15
	s_branch .LBB3_1360
.LBB3_1358:                             ;   in Loop: Header=BB3_1338 Depth=1
	v_mov_b32_e32 v14, 0
	v_mov_b32_e32 v15, 0
.LBB3_1359:                             ;   in Loop: Header=BB3_1338 Depth=1
	s_mov_b32 s15, 0
	s_cbranch_execnz .LBB3_1361
.LBB3_1360:                             ;   in Loop: Header=BB3_1338 Depth=1
	global_load_dwordx2 v[14:15], v28, s[4:5]
	s_add_i32 s15, s22, -8
	s_add_u32 s4, s4, 8
	s_addc_u32 s5, s5, 0
.LBB3_1361:                             ;   in Loop: Header=BB3_1338 Depth=1
	s_cmp_gt_u32 s15, 7
	s_cbranch_scc1 .LBB3_1365
; %bb.1362:                             ;   in Loop: Header=BB3_1338 Depth=1
	s_cmp_eq_u32 s15, 0
	s_cbranch_scc1 .LBB3_1366
; %bb.1363:                             ;   in Loop: Header=BB3_1338 Depth=1
	v_mov_b32_e32 v16, 0
	s_mov_b64 s[18:19], 0
	v_mov_b32_e32 v17, 0
	s_mov_b64 s[20:21], 0
.LBB3_1364:                             ;   Parent Loop BB3_1338 Depth=1
                                        ; =>  This Inner Loop Header: Depth=2
	s_add_u32 s22, s4, s20
	s_addc_u32 s23, s5, s21
	global_load_ubyte v8, v28, s[22:23]
	s_add_u32 s20, s20, 1
	s_addc_u32 s21, s21, 0
	s_waitcnt vmcnt(0)
	v_and_b32_e32 v27, 0xffff, v8
	v_lshlrev_b64 v[8:9], s18, v[27:28]
	s_add_u32 s18, s18, 8
	s_addc_u32 s19, s19, 0
	v_or_b32_e32 v16, v8, v16
	s_cmp_lg_u32 s15, s20
	v_or_b32_e32 v17, v9, v17
	s_cbranch_scc1 .LBB3_1364
	s_branch .LBB3_1367
.LBB3_1365:                             ;   in Loop: Header=BB3_1338 Depth=1
                                        ; implicit-def: $vgpr16_vgpr17
                                        ; implicit-def: $sgpr22
	s_branch .LBB3_1368
.LBB3_1366:                             ;   in Loop: Header=BB3_1338 Depth=1
	v_mov_b32_e32 v16, 0
	v_mov_b32_e32 v17, 0
.LBB3_1367:                             ;   in Loop: Header=BB3_1338 Depth=1
	s_mov_b32 s22, 0
	s_cbranch_execnz .LBB3_1369
.LBB3_1368:                             ;   in Loop: Header=BB3_1338 Depth=1
	global_load_dwordx2 v[16:17], v28, s[4:5]
	s_add_i32 s22, s15, -8
	s_add_u32 s4, s4, 8
	s_addc_u32 s5, s5, 0
.LBB3_1369:                             ;   in Loop: Header=BB3_1338 Depth=1
	s_cmp_gt_u32 s22, 7
	s_cbranch_scc1 .LBB3_1373
; %bb.1370:                             ;   in Loop: Header=BB3_1338 Depth=1
	s_cmp_eq_u32 s22, 0
	s_cbranch_scc1 .LBB3_1374
; %bb.1371:                             ;   in Loop: Header=BB3_1338 Depth=1
	v_mov_b32_e32 v18, 0
	s_mov_b64 s[18:19], 0
	v_mov_b32_e32 v19, 0
	s_mov_b64 s[20:21], 0
.LBB3_1372:                             ;   Parent Loop BB3_1338 Depth=1
                                        ; =>  This Inner Loop Header: Depth=2
	s_add_u32 s24, s4, s20
	s_addc_u32 s25, s5, s21
	global_load_ubyte v8, v28, s[24:25]
	s_add_u32 s20, s20, 1
	s_addc_u32 s21, s21, 0
	s_waitcnt vmcnt(0)
	v_and_b32_e32 v27, 0xffff, v8
	v_lshlrev_b64 v[8:9], s18, v[27:28]
	s_add_u32 s18, s18, 8
	s_addc_u32 s19, s19, 0
	v_or_b32_e32 v18, v8, v18
	s_cmp_lg_u32 s22, s20
	v_or_b32_e32 v19, v9, v19
	s_cbranch_scc1 .LBB3_1372
	s_branch .LBB3_1375
.LBB3_1373:                             ;   in Loop: Header=BB3_1338 Depth=1
                                        ; implicit-def: $sgpr15
	s_branch .LBB3_1376
.LBB3_1374:                             ;   in Loop: Header=BB3_1338 Depth=1
	v_mov_b32_e32 v18, 0
	v_mov_b32_e32 v19, 0
.LBB3_1375:                             ;   in Loop: Header=BB3_1338 Depth=1
	s_mov_b32 s15, 0
	s_cbranch_execnz .LBB3_1377
.LBB3_1376:                             ;   in Loop: Header=BB3_1338 Depth=1
	global_load_dwordx2 v[18:19], v28, s[4:5]
	s_add_i32 s15, s22, -8
	s_add_u32 s4, s4, 8
	s_addc_u32 s5, s5, 0
.LBB3_1377:                             ;   in Loop: Header=BB3_1338 Depth=1
	s_cmp_gt_u32 s15, 7
	s_cbranch_scc1 .LBB3_1381
; %bb.1378:                             ;   in Loop: Header=BB3_1338 Depth=1
	s_cmp_eq_u32 s15, 0
	s_cbranch_scc1 .LBB3_1382
; %bb.1379:                             ;   in Loop: Header=BB3_1338 Depth=1
	v_mov_b32_e32 v20, 0
	s_mov_b64 s[18:19], 0
	v_mov_b32_e32 v21, 0
	s_mov_b64 s[20:21], 0
.LBB3_1380:                             ;   Parent Loop BB3_1338 Depth=1
                                        ; =>  This Inner Loop Header: Depth=2
	s_add_u32 s22, s4, s20
	s_addc_u32 s23, s5, s21
	global_load_ubyte v8, v28, s[22:23]
	s_add_u32 s20, s20, 1
	s_addc_u32 s21, s21, 0
	s_waitcnt vmcnt(0)
	v_and_b32_e32 v27, 0xffff, v8
	v_lshlrev_b64 v[8:9], s18, v[27:28]
	s_add_u32 s18, s18, 8
	s_addc_u32 s19, s19, 0
	v_or_b32_e32 v20, v8, v20
	s_cmp_lg_u32 s15, s20
	v_or_b32_e32 v21, v9, v21
	s_cbranch_scc1 .LBB3_1380
	s_branch .LBB3_1383
.LBB3_1381:                             ;   in Loop: Header=BB3_1338 Depth=1
                                        ; implicit-def: $vgpr20_vgpr21
                                        ; implicit-def: $sgpr22
	s_branch .LBB3_1384
.LBB3_1382:                             ;   in Loop: Header=BB3_1338 Depth=1
	v_mov_b32_e32 v20, 0
	v_mov_b32_e32 v21, 0
.LBB3_1383:                             ;   in Loop: Header=BB3_1338 Depth=1
	s_mov_b32 s22, 0
	s_cbranch_execnz .LBB3_1385
.LBB3_1384:                             ;   in Loop: Header=BB3_1338 Depth=1
	global_load_dwordx2 v[20:21], v28, s[4:5]
	s_add_i32 s22, s15, -8
	s_add_u32 s4, s4, 8
	s_addc_u32 s5, s5, 0
.LBB3_1385:                             ;   in Loop: Header=BB3_1338 Depth=1
	s_cmp_gt_u32 s22, 7
	s_cbranch_scc1 .LBB3_1389
; %bb.1386:                             ;   in Loop: Header=BB3_1338 Depth=1
	s_cmp_eq_u32 s22, 0
	s_cbranch_scc1 .LBB3_1390
; %bb.1387:                             ;   in Loop: Header=BB3_1338 Depth=1
	v_mov_b32_e32 v22, 0
	s_mov_b64 s[18:19], 0
	v_mov_b32_e32 v23, 0
	s_mov_b64 s[20:21], s[4:5]
.LBB3_1388:                             ;   Parent Loop BB3_1338 Depth=1
                                        ; =>  This Inner Loop Header: Depth=2
	global_load_ubyte v8, v28, s[20:21]
	s_add_i32 s22, s22, -1
	s_waitcnt vmcnt(0)
	v_and_b32_e32 v27, 0xffff, v8
	v_lshlrev_b64 v[8:9], s18, v[27:28]
	s_add_u32 s18, s18, 8
	s_addc_u32 s19, s19, 0
	s_add_u32 s20, s20, 1
	s_addc_u32 s21, s21, 0
	v_or_b32_e32 v22, v8, v22
	s_cmp_lg_u32 s22, 0
	v_or_b32_e32 v23, v9, v23
	s_cbranch_scc1 .LBB3_1388
	s_branch .LBB3_1391
.LBB3_1389:                             ;   in Loop: Header=BB3_1338 Depth=1
	s_branch .LBB3_1392
.LBB3_1390:                             ;   in Loop: Header=BB3_1338 Depth=1
	v_mov_b32_e32 v22, 0
	v_mov_b32_e32 v23, 0
.LBB3_1391:                             ;   in Loop: Header=BB3_1338 Depth=1
	s_cbranch_execnz .LBB3_1393
.LBB3_1392:                             ;   in Loop: Header=BB3_1338 Depth=1
	global_load_dwordx2 v[22:23], v28, s[4:5]
.LBB3_1393:                             ;   in Loop: Header=BB3_1338 Depth=1
	v_readfirstlane_b32 s4, v51
	v_mov_b32_e32 v8, 0
	v_mov_b32_e32 v9, 0
	v_cmp_eq_u32_e64 s[4:5], s4, v51
	s_and_saveexec_b64 s[18:19], s[4:5]
	s_cbranch_execz .LBB3_1399
; %bb.1394:                             ;   in Loop: Header=BB3_1338 Depth=1
	global_load_dwordx2 v[26:27], v28, s[44:45] offset:24 glc
	s_waitcnt vmcnt(0)
	buffer_wbinvl1_vol
	global_load_dwordx2 v[8:9], v28, s[44:45] offset:40
	global_load_dwordx2 v[24:25], v28, s[44:45]
	s_waitcnt vmcnt(1)
	v_and_b32_e32 v8, v8, v26
	v_and_b32_e32 v9, v9, v27
	v_mul_lo_u32 v9, v9, 24
	v_mul_hi_u32 v29, v8, 24
	v_mul_lo_u32 v8, v8, 24
	v_add_u32_e32 v9, v29, v9
	s_waitcnt vmcnt(0)
	v_add_co_u32_e32 v8, vcc, v24, v8
	v_addc_co_u32_e32 v9, vcc, v25, v9, vcc
	global_load_dwordx2 v[24:25], v[8:9], off glc
	s_waitcnt vmcnt(0)
	global_atomic_cmpswap_x2 v[8:9], v28, v[24:27], s[44:45] offset:24 glc
	s_waitcnt vmcnt(0)
	buffer_wbinvl1_vol
	v_cmp_ne_u64_e32 vcc, v[8:9], v[26:27]
	s_and_saveexec_b64 s[20:21], vcc
	s_cbranch_execz .LBB3_1398
; %bb.1395:                             ;   in Loop: Header=BB3_1338 Depth=1
	s_mov_b64 s[22:23], 0
.LBB3_1396:                             ;   Parent Loop BB3_1338 Depth=1
                                        ; =>  This Inner Loop Header: Depth=2
	s_sleep 1
	global_load_dwordx2 v[24:25], v28, s[44:45] offset:40
	global_load_dwordx2 v[29:30], v28, s[44:45]
	v_mov_b32_e32 v27, v9
	v_mov_b32_e32 v26, v8
	s_waitcnt vmcnt(1)
	v_and_b32_e32 v8, v24, v26
	s_waitcnt vmcnt(0)
	v_mad_u64_u32 v[8:9], s[24:25], v8, 24, v[29:30]
	v_and_b32_e32 v24, v25, v27
	v_mad_u64_u32 v[24:25], s[24:25], v24, 24, v[9:10]
	v_mov_b32_e32 v9, v24
	global_load_dwordx2 v[24:25], v[8:9], off glc
	s_waitcnt vmcnt(0)
	global_atomic_cmpswap_x2 v[8:9], v28, v[24:27], s[44:45] offset:24 glc
	s_waitcnt vmcnt(0)
	buffer_wbinvl1_vol
	v_cmp_eq_u64_e32 vcc, v[8:9], v[26:27]
	s_or_b64 s[22:23], vcc, s[22:23]
	s_andn2_b64 exec, exec, s[22:23]
	s_cbranch_execnz .LBB3_1396
; %bb.1397:                             ;   in Loop: Header=BB3_1338 Depth=1
	s_or_b64 exec, exec, s[22:23]
.LBB3_1398:                             ;   in Loop: Header=BB3_1338 Depth=1
	s_or_b64 exec, exec, s[20:21]
.LBB3_1399:                             ;   in Loop: Header=BB3_1338 Depth=1
	s_or_b64 exec, exec, s[18:19]
	global_load_dwordx2 v[29:30], v28, s[44:45] offset:40
	global_load_dwordx4 v[24:27], v28, s[44:45]
	v_readfirstlane_b32 s18, v8
	v_readfirstlane_b32 s19, v9
	s_mov_b64 s[20:21], exec
	s_waitcnt vmcnt(1)
	v_readfirstlane_b32 s22, v29
	v_readfirstlane_b32 s23, v30
	s_and_b64 s[22:23], s[18:19], s[22:23]
	s_mul_i32 s15, s23, 24
	s_mul_hi_u32 s24, s22, 24
	s_mul_i32 s25, s22, 24
	s_add_i32 s15, s24, s15
	v_mov_b32_e32 v8, s15
	s_waitcnt vmcnt(0)
	v_add_co_u32_e32 v29, vcc, s25, v24
	v_addc_co_u32_e32 v30, vcc, v25, v8, vcc
	s_and_saveexec_b64 s[24:25], s[4:5]
	s_cbranch_execz .LBB3_1401
; %bb.1400:                             ;   in Loop: Header=BB3_1338 Depth=1
	v_mov_b32_e32 v8, s20
	v_mov_b32_e32 v9, s21
	global_store_dwordx4 v[29:30], v[8:11], off offset:8
.LBB3_1401:                             ;   in Loop: Header=BB3_1338 Depth=1
	s_or_b64 exec, exec, s[24:25]
	s_lshl_b64 s[20:21], s[22:23], 12
	v_mov_b32_e32 v8, s21
	v_add_co_u32_e32 v26, vcc, s20, v26
	v_addc_co_u32_e32 v32, vcc, v27, v8, vcc
	v_cmp_gt_u64_e64 vcc, s[10:11], 56
	v_or_b32_e32 v9, v0, v31
	s_lshl_b32 s15, s16, 2
	v_cndmask_b32_e32 v0, v9, v0, vcc
	s_add_i32 s15, s15, 28
	v_or_b32_e32 v8, 0, v1
	s_and_b32 s15, s15, 0x1e0
	v_and_b32_e32 v0, 0xffffff1f, v0
	v_cndmask_b32_e32 v1, v8, v1, vcc
	v_or_b32_e32 v0, s15, v0
	v_readfirstlane_b32 s20, v26
	v_readfirstlane_b32 s21, v32
	s_nop 4
	global_store_dwordx4 v50, v[0:3], s[20:21]
	global_store_dwordx4 v50, v[12:15], s[20:21] offset:16
	global_store_dwordx4 v50, v[16:19], s[20:21] offset:32
	;; [unrolled: 1-line block ×3, first 2 shown]
	s_and_saveexec_b64 s[20:21], s[4:5]
	s_cbranch_execz .LBB3_1409
; %bb.1402:                             ;   in Loop: Header=BB3_1338 Depth=1
	global_load_dwordx2 v[14:15], v28, s[44:45] offset:32 glc
	global_load_dwordx2 v[0:1], v28, s[44:45] offset:40
	v_mov_b32_e32 v12, s18
	v_mov_b32_e32 v13, s19
	s_waitcnt vmcnt(0)
	v_readfirstlane_b32 s22, v0
	v_readfirstlane_b32 s23, v1
	s_and_b64 s[22:23], s[22:23], s[18:19]
	s_mul_i32 s15, s23, 24
	s_mul_hi_u32 s23, s22, 24
	s_mul_i32 s22, s22, 24
	s_add_i32 s15, s23, s15
	v_mov_b32_e32 v0, s15
	v_add_co_u32_e32 v8, vcc, s22, v24
	v_addc_co_u32_e32 v9, vcc, v25, v0, vcc
	global_store_dwordx2 v[8:9], v[14:15], off
	s_waitcnt vmcnt(0)
	global_atomic_cmpswap_x2 v[2:3], v28, v[12:15], s[44:45] offset:32 glc
	s_waitcnt vmcnt(0)
	v_cmp_ne_u64_e32 vcc, v[2:3], v[14:15]
	s_and_saveexec_b64 s[22:23], vcc
	s_cbranch_execz .LBB3_1405
; %bb.1403:                             ;   in Loop: Header=BB3_1338 Depth=1
	s_mov_b64 s[24:25], 0
.LBB3_1404:                             ;   Parent Loop BB3_1338 Depth=1
                                        ; =>  This Inner Loop Header: Depth=2
	s_sleep 1
	global_store_dwordx2 v[8:9], v[2:3], off
	v_mov_b32_e32 v0, s18
	v_mov_b32_e32 v1, s19
	s_waitcnt vmcnt(0)
	global_atomic_cmpswap_x2 v[0:1], v28, v[0:3], s[44:45] offset:32 glc
	s_waitcnt vmcnt(0)
	v_cmp_eq_u64_e32 vcc, v[0:1], v[2:3]
	v_mov_b32_e32 v3, v1
	s_or_b64 s[24:25], vcc, s[24:25]
	v_mov_b32_e32 v2, v0
	s_andn2_b64 exec, exec, s[24:25]
	s_cbranch_execnz .LBB3_1404
.LBB3_1405:                             ;   in Loop: Header=BB3_1338 Depth=1
	s_or_b64 exec, exec, s[22:23]
	global_load_dwordx2 v[0:1], v28, s[44:45] offset:16
	s_mov_b64 s[24:25], exec
	v_mbcnt_lo_u32_b32 v2, s24, 0
	v_mbcnt_hi_u32_b32 v2, s25, v2
	v_cmp_eq_u32_e32 vcc, 0, v2
	s_and_saveexec_b64 s[22:23], vcc
	s_cbranch_execz .LBB3_1407
; %bb.1406:                             ;   in Loop: Header=BB3_1338 Depth=1
	s_bcnt1_i32_b64 s15, s[24:25]
	v_mov_b32_e32 v27, s15
	s_waitcnt vmcnt(0)
	global_atomic_add_x2 v[0:1], v[27:28], off offset:8
.LBB3_1407:                             ;   in Loop: Header=BB3_1338 Depth=1
	s_or_b64 exec, exec, s[22:23]
	s_waitcnt vmcnt(0)
	global_load_dwordx2 v[2:3], v[0:1], off offset:16
	s_waitcnt vmcnt(0)
	v_cmp_eq_u64_e32 vcc, 0, v[2:3]
	s_cbranch_vccnz .LBB3_1409
; %bb.1408:                             ;   in Loop: Header=BB3_1338 Depth=1
	global_load_dword v27, v[0:1], off offset:24
	s_waitcnt vmcnt(0)
	v_and_b32_e32 v0, 0xffffff, v27
	v_readfirstlane_b32 m0, v0
	global_store_dwordx2 v[2:3], v[27:28], off
	s_sendmsg sendmsg(MSG_INTERRUPT)
.LBB3_1409:                             ;   in Loop: Header=BB3_1338 Depth=1
	s_or_b64 exec, exec, s[20:21]
	v_add_co_u32_e32 v0, vcc, v26, v50
	v_addc_co_u32_e32 v1, vcc, 0, v32, vcc
	s_branch .LBB3_1413
.LBB3_1410:                             ;   in Loop: Header=BB3_1413 Depth=2
	s_or_b64 exec, exec, s[20:21]
	v_readfirstlane_b32 s15, v2
	s_cmp_eq_u32 s15, 0
	s_cbranch_scc1 .LBB3_1412
; %bb.1411:                             ;   in Loop: Header=BB3_1413 Depth=2
	s_sleep 1
	s_cbranch_execnz .LBB3_1413
	s_branch .LBB3_1415
.LBB3_1412:                             ;   in Loop: Header=BB3_1338 Depth=1
	s_branch .LBB3_1415
.LBB3_1413:                             ;   Parent Loop BB3_1338 Depth=1
                                        ; =>  This Inner Loop Header: Depth=2
	v_mov_b32_e32 v2, 1
	s_and_saveexec_b64 s[20:21], s[4:5]
	s_cbranch_execz .LBB3_1410
; %bb.1414:                             ;   in Loop: Header=BB3_1413 Depth=2
	global_load_dword v2, v[29:30], off offset:20 glc
	s_waitcnt vmcnt(0)
	buffer_wbinvl1_vol
	v_and_b32_e32 v2, 1, v2
	s_branch .LBB3_1410
.LBB3_1415:                             ;   in Loop: Header=BB3_1338 Depth=1
	global_load_dwordx4 v[0:3], v[0:1], off
	s_and_saveexec_b64 s[20:21], s[4:5]
	s_cbranch_execz .LBB3_1337
; %bb.1416:                             ;   in Loop: Header=BB3_1338 Depth=1
	global_load_dwordx2 v[2:3], v28, s[44:45] offset:40
	global_load_dwordx2 v[8:9], v28, s[44:45] offset:24 glc
	global_load_dwordx2 v[15:16], v28, s[44:45]
	v_mov_b32_e32 v13, s19
	s_waitcnt vmcnt(2)
	v_add_co_u32_e32 v14, vcc, 1, v2
	v_addc_co_u32_e32 v17, vcc, 0, v3, vcc
	v_add_co_u32_e32 v12, vcc, s18, v14
	v_addc_co_u32_e32 v13, vcc, v17, v13, vcc
	v_cmp_eq_u64_e32 vcc, 0, v[12:13]
	v_cndmask_b32_e32 v13, v13, v17, vcc
	v_cndmask_b32_e32 v12, v12, v14, vcc
	v_and_b32_e32 v3, v13, v3
	v_and_b32_e32 v2, v12, v2
	v_mul_lo_u32 v3, v3, 24
	v_mul_hi_u32 v17, v2, 24
	v_mul_lo_u32 v2, v2, 24
	s_waitcnt vmcnt(1)
	v_mov_b32_e32 v14, v8
	v_add_u32_e32 v3, v17, v3
	s_waitcnt vmcnt(0)
	v_add_co_u32_e32 v2, vcc, v15, v2
	v_addc_co_u32_e32 v3, vcc, v16, v3, vcc
	global_store_dwordx2 v[2:3], v[8:9], off
	v_mov_b32_e32 v15, v9
	s_waitcnt vmcnt(0)
	global_atomic_cmpswap_x2 v[14:15], v28, v[12:15], s[44:45] offset:24 glc
	s_waitcnt vmcnt(0)
	v_cmp_ne_u64_e32 vcc, v[14:15], v[8:9]
	s_and_b64 exec, exec, vcc
	s_cbranch_execz .LBB3_1337
; %bb.1417:                             ;   in Loop: Header=BB3_1338 Depth=1
	s_mov_b64 s[4:5], 0
.LBB3_1418:                             ;   Parent Loop BB3_1338 Depth=1
                                        ; =>  This Inner Loop Header: Depth=2
	s_sleep 1
	global_store_dwordx2 v[2:3], v[14:15], off
	s_waitcnt vmcnt(0)
	global_atomic_cmpswap_x2 v[8:9], v28, v[12:15], s[44:45] offset:24 glc
	s_waitcnt vmcnt(0)
	v_cmp_eq_u64_e32 vcc, v[8:9], v[14:15]
	v_mov_b32_e32 v15, v9
	s_or_b64 s[4:5], vcc, s[4:5]
	v_mov_b32_e32 v14, v8
	s_andn2_b64 exec, exec, s[4:5]
	s_cbranch_execnz .LBB3_1418
	s_branch .LBB3_1337
.LBB3_1419:
	s_branch .LBB3_1447
.LBB3_1420:
                                        ; implicit-def: $vgpr0_vgpr1
	s_cbranch_execz .LBB3_1447
; %bb.1421:
	v_readfirstlane_b32 s4, v51
	v_mov_b32_e32 v9, 0
	v_mov_b32_e32 v10, 0
	v_cmp_eq_u32_e64 s[4:5], s4, v51
	s_and_saveexec_b64 s[6:7], s[4:5]
	s_cbranch_execz .LBB3_1427
; %bb.1422:
	s_waitcnt vmcnt(0)
	v_mov_b32_e32 v0, 0
	global_load_dwordx2 v[11:12], v0, s[44:45] offset:24 glc
	s_waitcnt vmcnt(0)
	buffer_wbinvl1_vol
	global_load_dwordx2 v[1:2], v0, s[44:45] offset:40
	global_load_dwordx2 v[8:9], v0, s[44:45]
	s_waitcnt vmcnt(1)
	v_and_b32_e32 v1, v1, v11
	v_and_b32_e32 v2, v2, v12
	v_mul_lo_u32 v2, v2, 24
	v_mul_hi_u32 v3, v1, 24
	v_mul_lo_u32 v1, v1, 24
	v_add_u32_e32 v2, v3, v2
	s_waitcnt vmcnt(0)
	v_add_co_u32_e32 v1, vcc, v8, v1
	v_addc_co_u32_e32 v2, vcc, v9, v2, vcc
	global_load_dwordx2 v[9:10], v[1:2], off glc
	s_waitcnt vmcnt(0)
	global_atomic_cmpswap_x2 v[9:10], v0, v[9:12], s[44:45] offset:24 glc
	s_waitcnt vmcnt(0)
	buffer_wbinvl1_vol
	v_cmp_ne_u64_e32 vcc, v[9:10], v[11:12]
	s_and_saveexec_b64 s[10:11], vcc
	s_cbranch_execz .LBB3_1426
; %bb.1423:
	s_mov_b64 s[16:17], 0
.LBB3_1424:                             ; =>This Inner Loop Header: Depth=1
	s_sleep 1
	global_load_dwordx2 v[1:2], v0, s[44:45] offset:40
	global_load_dwordx2 v[13:14], v0, s[44:45]
	v_mov_b32_e32 v12, v10
	v_mov_b32_e32 v11, v9
	s_waitcnt vmcnt(1)
	v_and_b32_e32 v1, v1, v11
	s_waitcnt vmcnt(0)
	v_mad_u64_u32 v[8:9], s[18:19], v1, 24, v[13:14]
	v_and_b32_e32 v2, v2, v12
	v_mov_b32_e32 v1, v9
	v_mad_u64_u32 v[1:2], s[18:19], v2, 24, v[1:2]
	v_mov_b32_e32 v9, v1
	global_load_dwordx2 v[9:10], v[8:9], off glc
	s_waitcnt vmcnt(0)
	global_atomic_cmpswap_x2 v[9:10], v0, v[9:12], s[44:45] offset:24 glc
	s_waitcnt vmcnt(0)
	buffer_wbinvl1_vol
	v_cmp_eq_u64_e32 vcc, v[9:10], v[11:12]
	s_or_b64 s[16:17], vcc, s[16:17]
	s_andn2_b64 exec, exec, s[16:17]
	s_cbranch_execnz .LBB3_1424
; %bb.1425:
	s_or_b64 exec, exec, s[16:17]
.LBB3_1426:
	s_or_b64 exec, exec, s[10:11]
.LBB3_1427:
	s_or_b64 exec, exec, s[6:7]
	v_mov_b32_e32 v8, 0
	global_load_dwordx2 v[11:12], v8, s[44:45] offset:40
	global_load_dwordx4 v[0:3], v8, s[44:45]
	v_readfirstlane_b32 s6, v9
	v_readfirstlane_b32 s7, v10
	s_mov_b64 s[10:11], exec
	s_waitcnt vmcnt(1)
	v_readfirstlane_b32 s16, v11
	v_readfirstlane_b32 s17, v12
	s_and_b64 s[16:17], s[6:7], s[16:17]
	s_mul_i32 s15, s17, 24
	s_mul_hi_u32 s18, s16, 24
	s_mul_i32 s19, s16, 24
	s_add_i32 s15, s18, s15
	v_mov_b32_e32 v9, s15
	s_waitcnt vmcnt(0)
	v_add_co_u32_e32 v10, vcc, s19, v0
	v_addc_co_u32_e32 v11, vcc, v1, v9, vcc
	s_and_saveexec_b64 s[18:19], s[4:5]
	s_cbranch_execz .LBB3_1429
; %bb.1428:
	v_mov_b32_e32 v13, s11
	v_mov_b32_e32 v12, s10
	;; [unrolled: 1-line block ×4, first 2 shown]
	global_store_dwordx4 v[10:11], v[12:15], off offset:8
.LBB3_1429:
	s_or_b64 exec, exec, s[18:19]
	s_lshl_b64 s[10:11], s[16:17], 12
	v_mov_b32_e32 v9, s11
	v_add_co_u32_e32 v2, vcc, s10, v2
	v_addc_co_u32_e32 v3, vcc, v3, v9, vcc
	s_movk_i32 s10, 0xff1f
	v_and_or_b32 v6, v6, s10, 32
	s_mov_b32 s16, 0
	v_mov_b32_e32 v9, v8
	v_readfirstlane_b32 s10, v2
	v_readfirstlane_b32 s11, v3
	v_add_co_u32_e32 v12, vcc, v2, v50
	s_mov_b32 s17, s16
	s_mov_b32 s18, s16
	;; [unrolled: 1-line block ×3, first 2 shown]
	s_nop 0
	global_store_dwordx4 v50, v[6:9], s[10:11]
	v_addc_co_u32_e32 v13, vcc, 0, v3, vcc
	v_mov_b32_e32 v6, s16
	v_mov_b32_e32 v7, s17
	;; [unrolled: 1-line block ×4, first 2 shown]
	global_store_dwordx4 v50, v[6:9], s[10:11] offset:16
	global_store_dwordx4 v50, v[6:9], s[10:11] offset:32
	global_store_dwordx4 v50, v[6:9], s[10:11] offset:48
	s_and_saveexec_b64 s[10:11], s[4:5]
	s_cbranch_execz .LBB3_1437
; %bb.1430:
	v_mov_b32_e32 v8, 0
	global_load_dwordx2 v[16:17], v8, s[44:45] offset:32 glc
	global_load_dwordx2 v[2:3], v8, s[44:45] offset:40
	v_mov_b32_e32 v14, s6
	v_mov_b32_e32 v15, s7
	s_waitcnt vmcnt(0)
	v_readfirstlane_b32 s16, v2
	v_readfirstlane_b32 s17, v3
	s_and_b64 s[16:17], s[16:17], s[6:7]
	s_mul_i32 s15, s17, 24
	s_mul_hi_u32 s17, s16, 24
	s_mul_i32 s16, s16, 24
	s_add_i32 s15, s17, s15
	v_mov_b32_e32 v2, s15
	v_add_co_u32_e32 v6, vcc, s16, v0
	v_addc_co_u32_e32 v7, vcc, v1, v2, vcc
	global_store_dwordx2 v[6:7], v[16:17], off
	s_waitcnt vmcnt(0)
	global_atomic_cmpswap_x2 v[2:3], v8, v[14:17], s[44:45] offset:32 glc
	s_waitcnt vmcnt(0)
	v_cmp_ne_u64_e32 vcc, v[2:3], v[16:17]
	s_and_saveexec_b64 s[16:17], vcc
	s_cbranch_execz .LBB3_1433
; %bb.1431:
	s_mov_b64 s[18:19], 0
.LBB3_1432:                             ; =>This Inner Loop Header: Depth=1
	s_sleep 1
	global_store_dwordx2 v[6:7], v[2:3], off
	v_mov_b32_e32 v0, s6
	v_mov_b32_e32 v1, s7
	s_waitcnt vmcnt(0)
	global_atomic_cmpswap_x2 v[0:1], v8, v[0:3], s[44:45] offset:32 glc
	s_waitcnt vmcnt(0)
	v_cmp_eq_u64_e32 vcc, v[0:1], v[2:3]
	v_mov_b32_e32 v3, v1
	s_or_b64 s[18:19], vcc, s[18:19]
	v_mov_b32_e32 v2, v0
	s_andn2_b64 exec, exec, s[18:19]
	s_cbranch_execnz .LBB3_1432
.LBB3_1433:
	s_or_b64 exec, exec, s[16:17]
	v_mov_b32_e32 v3, 0
	global_load_dwordx2 v[0:1], v3, s[44:45] offset:16
	s_mov_b64 s[16:17], exec
	v_mbcnt_lo_u32_b32 v2, s16, 0
	v_mbcnt_hi_u32_b32 v2, s17, v2
	v_cmp_eq_u32_e32 vcc, 0, v2
	s_and_saveexec_b64 s[18:19], vcc
	s_cbranch_execz .LBB3_1435
; %bb.1434:
	s_bcnt1_i32_b64 s15, s[16:17]
	v_mov_b32_e32 v2, s15
	s_waitcnt vmcnt(0)
	global_atomic_add_x2 v[0:1], v[2:3], off offset:8
.LBB3_1435:
	s_or_b64 exec, exec, s[18:19]
	s_waitcnt vmcnt(0)
	global_load_dwordx2 v[2:3], v[0:1], off offset:16
	s_waitcnt vmcnt(0)
	v_cmp_eq_u64_e32 vcc, 0, v[2:3]
	s_cbranch_vccnz .LBB3_1437
; %bb.1436:
	global_load_dword v0, v[0:1], off offset:24
	v_mov_b32_e32 v1, 0
	s_waitcnt vmcnt(0)
	global_store_dwordx2 v[2:3], v[0:1], off
	v_and_b32_e32 v0, 0xffffff, v0
	v_readfirstlane_b32 m0, v0
	s_sendmsg sendmsg(MSG_INTERRUPT)
.LBB3_1437:
	s_or_b64 exec, exec, s[10:11]
	s_branch .LBB3_1441
.LBB3_1438:                             ;   in Loop: Header=BB3_1441 Depth=1
	s_or_b64 exec, exec, s[10:11]
	v_readfirstlane_b32 s10, v0
	s_cmp_eq_u32 s10, 0
	s_cbranch_scc1 .LBB3_1440
; %bb.1439:                             ;   in Loop: Header=BB3_1441 Depth=1
	s_sleep 1
	s_cbranch_execnz .LBB3_1441
	s_branch .LBB3_1443
.LBB3_1440:
	s_branch .LBB3_1443
.LBB3_1441:                             ; =>This Inner Loop Header: Depth=1
	v_mov_b32_e32 v0, 1
	s_and_saveexec_b64 s[10:11], s[4:5]
	s_cbranch_execz .LBB3_1438
; %bb.1442:                             ;   in Loop: Header=BB3_1441 Depth=1
	global_load_dword v0, v[10:11], off offset:20 glc
	s_waitcnt vmcnt(0)
	buffer_wbinvl1_vol
	v_and_b32_e32 v0, 1, v0
	s_branch .LBB3_1438
.LBB3_1443:
	global_load_dwordx2 v[0:1], v[12:13], off
	s_and_saveexec_b64 s[10:11], s[4:5]
	s_cbranch_execz .LBB3_1446
; %bb.1444:
	v_mov_b32_e32 v10, 0
	global_load_dwordx2 v[2:3], v10, s[44:45] offset:40
	global_load_dwordx2 v[11:12], v10, s[44:45] offset:24 glc
	global_load_dwordx2 v[13:14], v10, s[44:45]
	v_mov_b32_e32 v7, s7
	s_mov_b64 s[4:5], 0
	s_waitcnt vmcnt(2)
	v_add_co_u32_e32 v8, vcc, 1, v2
	v_addc_co_u32_e32 v9, vcc, 0, v3, vcc
	v_add_co_u32_e32 v6, vcc, s6, v8
	v_addc_co_u32_e32 v7, vcc, v9, v7, vcc
	v_cmp_eq_u64_e32 vcc, 0, v[6:7]
	v_cndmask_b32_e32 v7, v7, v9, vcc
	v_cndmask_b32_e32 v6, v6, v8, vcc
	v_and_b32_e32 v3, v7, v3
	v_and_b32_e32 v2, v6, v2
	v_mul_lo_u32 v3, v3, 24
	v_mul_hi_u32 v9, v2, 24
	v_mul_lo_u32 v2, v2, 24
	s_waitcnt vmcnt(1)
	v_mov_b32_e32 v8, v11
	v_add_u32_e32 v3, v9, v3
	s_waitcnt vmcnt(0)
	v_add_co_u32_e32 v2, vcc, v13, v2
	v_addc_co_u32_e32 v3, vcc, v14, v3, vcc
	global_store_dwordx2 v[2:3], v[11:12], off
	v_mov_b32_e32 v9, v12
	s_waitcnt vmcnt(0)
	global_atomic_cmpswap_x2 v[8:9], v10, v[6:9], s[44:45] offset:24 glc
	s_waitcnt vmcnt(0)
	v_cmp_ne_u64_e32 vcc, v[8:9], v[11:12]
	s_and_b64 exec, exec, vcc
	s_cbranch_execz .LBB3_1446
.LBB3_1445:                             ; =>This Inner Loop Header: Depth=1
	s_sleep 1
	global_store_dwordx2 v[2:3], v[8:9], off
	s_waitcnt vmcnt(0)
	global_atomic_cmpswap_x2 v[11:12], v10, v[6:9], s[44:45] offset:24 glc
	s_waitcnt vmcnt(0)
	v_cmp_eq_u64_e32 vcc, v[11:12], v[8:9]
	v_mov_b32_e32 v8, v11
	s_or_b64 s[4:5], vcc, s[4:5]
	v_mov_b32_e32 v9, v12
	s_andn2_b64 exec, exec, s[4:5]
	s_cbranch_execnz .LBB3_1445
.LBB3_1446:
	s_or_b64 exec, exec, s[10:11]
.LBB3_1447:
	s_getpc_b64 s[6:7]
	s_add_u32 s6, s6, .str.2@rel32@lo+4
	s_addc_u32 s7, s7, .str.2@rel32@hi+12
	s_cmp_lg_u64 s[6:7], 0
	s_cbranch_scc0 .LBB3_1532
; %bb.1448:
	s_waitcnt vmcnt(0)
	v_and_b32_e32 v10, -3, v0
	v_mov_b32_e32 v11, v1
	s_mov_b64 s[10:11], 13
	v_mov_b32_e32 v3, 0
	v_mov_b32_e32 v8, 2
	;; [unrolled: 1-line block ×3, first 2 shown]
	s_branch .LBB3_1450
.LBB3_1449:                             ;   in Loop: Header=BB3_1450 Depth=1
	s_or_b64 exec, exec, s[20:21]
	s_sub_u32 s10, s10, s16
	s_subb_u32 s11, s11, s17
	s_add_u32 s6, s6, s16
	s_addc_u32 s7, s7, s17
	s_cmp_lg_u64 s[10:11], 0
	s_cbranch_scc0 .LBB3_1531
.LBB3_1450:                             ; =>This Loop Header: Depth=1
                                        ;     Child Loop BB3_1453 Depth 2
                                        ;     Child Loop BB3_1460 Depth 2
	;; [unrolled: 1-line block ×11, first 2 shown]
	v_cmp_lt_u64_e64 s[4:5], s[10:11], 56
	v_cmp_gt_u64_e64 s[18:19], s[10:11], 7
	s_and_b64 s[4:5], s[4:5], exec
	s_cselect_b32 s17, s11, 0
	s_cselect_b32 s16, s10, 56
	s_and_b64 vcc, exec, s[18:19]
	s_cbranch_vccnz .LBB3_1455
; %bb.1451:                             ;   in Loop: Header=BB3_1450 Depth=1
	s_waitcnt vmcnt(0)
	v_mov_b32_e32 v12, 0
	s_cmp_eq_u64 s[10:11], 0
	v_mov_b32_e32 v13, 0
	s_mov_b64 s[4:5], 0
	s_cbranch_scc1 .LBB3_1454
; %bb.1452:                             ;   in Loop: Header=BB3_1450 Depth=1
	v_mov_b32_e32 v12, 0
	s_lshl_b64 s[18:19], s[16:17], 3
	s_mov_b64 s[20:21], 0
	v_mov_b32_e32 v13, 0
	s_mov_b64 s[22:23], s[6:7]
.LBB3_1453:                             ;   Parent Loop BB3_1450 Depth=1
                                        ; =>  This Inner Loop Header: Depth=2
	global_load_ubyte v2, v3, s[22:23]
	s_waitcnt vmcnt(0)
	v_and_b32_e32 v2, 0xffff, v2
	v_lshlrev_b64 v[6:7], s20, v[2:3]
	s_add_u32 s20, s20, 8
	s_addc_u32 s21, s21, 0
	s_add_u32 s22, s22, 1
	s_addc_u32 s23, s23, 0
	v_or_b32_e32 v12, v6, v12
	s_cmp_lg_u32 s18, s20
	v_or_b32_e32 v13, v7, v13
	s_cbranch_scc1 .LBB3_1453
.LBB3_1454:                             ;   in Loop: Header=BB3_1450 Depth=1
	s_mov_b32 s15, 0
	s_andn2_b64 vcc, exec, s[4:5]
	s_mov_b64 s[4:5], s[6:7]
	s_cbranch_vccz .LBB3_1456
	s_branch .LBB3_1457
.LBB3_1455:                             ;   in Loop: Header=BB3_1450 Depth=1
                                        ; implicit-def: $sgpr15
	s_mov_b64 s[4:5], s[6:7]
.LBB3_1456:                             ;   in Loop: Header=BB3_1450 Depth=1
	global_load_dwordx2 v[12:13], v3, s[6:7]
	s_add_i32 s15, s16, -8
	s_add_u32 s4, s6, 8
	s_addc_u32 s5, s7, 0
.LBB3_1457:                             ;   in Loop: Header=BB3_1450 Depth=1
	s_cmp_gt_u32 s15, 7
	s_cbranch_scc1 .LBB3_1461
; %bb.1458:                             ;   in Loop: Header=BB3_1450 Depth=1
	s_cmp_eq_u32 s15, 0
	s_cbranch_scc1 .LBB3_1462
; %bb.1459:                             ;   in Loop: Header=BB3_1450 Depth=1
	v_mov_b32_e32 v14, 0
	s_mov_b64 s[18:19], 0
	v_mov_b32_e32 v15, 0
	s_mov_b64 s[20:21], 0
.LBB3_1460:                             ;   Parent Loop BB3_1450 Depth=1
                                        ; =>  This Inner Loop Header: Depth=2
	s_add_u32 s22, s4, s20
	s_addc_u32 s23, s5, s21
	global_load_ubyte v2, v3, s[22:23]
	s_add_u32 s20, s20, 1
	s_addc_u32 s21, s21, 0
	s_waitcnt vmcnt(0)
	v_and_b32_e32 v2, 0xffff, v2
	v_lshlrev_b64 v[6:7], s18, v[2:3]
	s_add_u32 s18, s18, 8
	s_addc_u32 s19, s19, 0
	v_or_b32_e32 v14, v6, v14
	s_cmp_lg_u32 s15, s20
	v_or_b32_e32 v15, v7, v15
	s_cbranch_scc1 .LBB3_1460
	s_branch .LBB3_1463
.LBB3_1461:                             ;   in Loop: Header=BB3_1450 Depth=1
                                        ; implicit-def: $vgpr14_vgpr15
                                        ; implicit-def: $sgpr22
	s_branch .LBB3_1464
.LBB3_1462:                             ;   in Loop: Header=BB3_1450 Depth=1
	v_mov_b32_e32 v14, 0
	v_mov_b32_e32 v15, 0
.LBB3_1463:                             ;   in Loop: Header=BB3_1450 Depth=1
	s_mov_b32 s22, 0
	s_cbranch_execnz .LBB3_1465
.LBB3_1464:                             ;   in Loop: Header=BB3_1450 Depth=1
	global_load_dwordx2 v[14:15], v3, s[4:5]
	s_add_i32 s22, s15, -8
	s_add_u32 s4, s4, 8
	s_addc_u32 s5, s5, 0
.LBB3_1465:                             ;   in Loop: Header=BB3_1450 Depth=1
	s_cmp_gt_u32 s22, 7
	s_cbranch_scc1 .LBB3_1469
; %bb.1466:                             ;   in Loop: Header=BB3_1450 Depth=1
	s_cmp_eq_u32 s22, 0
	s_cbranch_scc1 .LBB3_1470
; %bb.1467:                             ;   in Loop: Header=BB3_1450 Depth=1
	v_mov_b32_e32 v16, 0
	s_mov_b64 s[18:19], 0
	v_mov_b32_e32 v17, 0
	s_mov_b64 s[20:21], 0
.LBB3_1468:                             ;   Parent Loop BB3_1450 Depth=1
                                        ; =>  This Inner Loop Header: Depth=2
	s_add_u32 s24, s4, s20
	s_addc_u32 s25, s5, s21
	global_load_ubyte v2, v3, s[24:25]
	s_add_u32 s20, s20, 1
	s_addc_u32 s21, s21, 0
	s_waitcnt vmcnt(0)
	v_and_b32_e32 v2, 0xffff, v2
	v_lshlrev_b64 v[6:7], s18, v[2:3]
	s_add_u32 s18, s18, 8
	s_addc_u32 s19, s19, 0
	v_or_b32_e32 v16, v6, v16
	s_cmp_lg_u32 s22, s20
	v_or_b32_e32 v17, v7, v17
	s_cbranch_scc1 .LBB3_1468
	s_branch .LBB3_1471
.LBB3_1469:                             ;   in Loop: Header=BB3_1450 Depth=1
                                        ; implicit-def: $sgpr15
	s_branch .LBB3_1472
.LBB3_1470:                             ;   in Loop: Header=BB3_1450 Depth=1
	v_mov_b32_e32 v16, 0
	v_mov_b32_e32 v17, 0
.LBB3_1471:                             ;   in Loop: Header=BB3_1450 Depth=1
	s_mov_b32 s15, 0
	s_cbranch_execnz .LBB3_1473
.LBB3_1472:                             ;   in Loop: Header=BB3_1450 Depth=1
	global_load_dwordx2 v[16:17], v3, s[4:5]
	s_add_i32 s15, s22, -8
	s_add_u32 s4, s4, 8
	s_addc_u32 s5, s5, 0
.LBB3_1473:                             ;   in Loop: Header=BB3_1450 Depth=1
	s_cmp_gt_u32 s15, 7
	s_cbranch_scc1 .LBB3_1477
; %bb.1474:                             ;   in Loop: Header=BB3_1450 Depth=1
	s_cmp_eq_u32 s15, 0
	s_cbranch_scc1 .LBB3_1478
; %bb.1475:                             ;   in Loop: Header=BB3_1450 Depth=1
	v_mov_b32_e32 v18, 0
	s_mov_b64 s[18:19], 0
	v_mov_b32_e32 v19, 0
	s_mov_b64 s[20:21], 0
.LBB3_1476:                             ;   Parent Loop BB3_1450 Depth=1
                                        ; =>  This Inner Loop Header: Depth=2
	s_add_u32 s22, s4, s20
	s_addc_u32 s23, s5, s21
	global_load_ubyte v2, v3, s[22:23]
	s_add_u32 s20, s20, 1
	s_addc_u32 s21, s21, 0
	s_waitcnt vmcnt(0)
	v_and_b32_e32 v2, 0xffff, v2
	v_lshlrev_b64 v[6:7], s18, v[2:3]
	s_add_u32 s18, s18, 8
	s_addc_u32 s19, s19, 0
	v_or_b32_e32 v18, v6, v18
	s_cmp_lg_u32 s15, s20
	v_or_b32_e32 v19, v7, v19
	s_cbranch_scc1 .LBB3_1476
	s_branch .LBB3_1479
.LBB3_1477:                             ;   in Loop: Header=BB3_1450 Depth=1
                                        ; implicit-def: $vgpr18_vgpr19
                                        ; implicit-def: $sgpr22
	s_branch .LBB3_1480
.LBB3_1478:                             ;   in Loop: Header=BB3_1450 Depth=1
	v_mov_b32_e32 v18, 0
	v_mov_b32_e32 v19, 0
.LBB3_1479:                             ;   in Loop: Header=BB3_1450 Depth=1
	s_mov_b32 s22, 0
	s_cbranch_execnz .LBB3_1481
.LBB3_1480:                             ;   in Loop: Header=BB3_1450 Depth=1
	global_load_dwordx2 v[18:19], v3, s[4:5]
	s_add_i32 s22, s15, -8
	s_add_u32 s4, s4, 8
	s_addc_u32 s5, s5, 0
.LBB3_1481:                             ;   in Loop: Header=BB3_1450 Depth=1
	s_cmp_gt_u32 s22, 7
	s_cbranch_scc1 .LBB3_1485
; %bb.1482:                             ;   in Loop: Header=BB3_1450 Depth=1
	s_cmp_eq_u32 s22, 0
	s_cbranch_scc1 .LBB3_1486
; %bb.1483:                             ;   in Loop: Header=BB3_1450 Depth=1
	v_mov_b32_e32 v20, 0
	s_mov_b64 s[18:19], 0
	v_mov_b32_e32 v21, 0
	s_mov_b64 s[20:21], 0
.LBB3_1484:                             ;   Parent Loop BB3_1450 Depth=1
                                        ; =>  This Inner Loop Header: Depth=2
	s_add_u32 s24, s4, s20
	s_addc_u32 s25, s5, s21
	global_load_ubyte v2, v3, s[24:25]
	s_add_u32 s20, s20, 1
	s_addc_u32 s21, s21, 0
	s_waitcnt vmcnt(0)
	v_and_b32_e32 v2, 0xffff, v2
	v_lshlrev_b64 v[6:7], s18, v[2:3]
	s_add_u32 s18, s18, 8
	s_addc_u32 s19, s19, 0
	v_or_b32_e32 v20, v6, v20
	s_cmp_lg_u32 s22, s20
	v_or_b32_e32 v21, v7, v21
	s_cbranch_scc1 .LBB3_1484
	s_branch .LBB3_1487
.LBB3_1485:                             ;   in Loop: Header=BB3_1450 Depth=1
                                        ; implicit-def: $sgpr15
	s_branch .LBB3_1488
.LBB3_1486:                             ;   in Loop: Header=BB3_1450 Depth=1
	v_mov_b32_e32 v20, 0
	v_mov_b32_e32 v21, 0
.LBB3_1487:                             ;   in Loop: Header=BB3_1450 Depth=1
	s_mov_b32 s15, 0
	s_cbranch_execnz .LBB3_1489
.LBB3_1488:                             ;   in Loop: Header=BB3_1450 Depth=1
	global_load_dwordx2 v[20:21], v3, s[4:5]
	s_add_i32 s15, s22, -8
	s_add_u32 s4, s4, 8
	s_addc_u32 s5, s5, 0
.LBB3_1489:                             ;   in Loop: Header=BB3_1450 Depth=1
	s_cmp_gt_u32 s15, 7
	s_cbranch_scc1 .LBB3_1493
; %bb.1490:                             ;   in Loop: Header=BB3_1450 Depth=1
	s_cmp_eq_u32 s15, 0
	s_cbranch_scc1 .LBB3_1494
; %bb.1491:                             ;   in Loop: Header=BB3_1450 Depth=1
	v_mov_b32_e32 v22, 0
	s_mov_b64 s[18:19], 0
	v_mov_b32_e32 v23, 0
	s_mov_b64 s[20:21], 0
.LBB3_1492:                             ;   Parent Loop BB3_1450 Depth=1
                                        ; =>  This Inner Loop Header: Depth=2
	s_add_u32 s22, s4, s20
	s_addc_u32 s23, s5, s21
	global_load_ubyte v2, v3, s[22:23]
	s_add_u32 s20, s20, 1
	s_addc_u32 s21, s21, 0
	s_waitcnt vmcnt(0)
	v_and_b32_e32 v2, 0xffff, v2
	v_lshlrev_b64 v[6:7], s18, v[2:3]
	s_add_u32 s18, s18, 8
	s_addc_u32 s19, s19, 0
	v_or_b32_e32 v22, v6, v22
	s_cmp_lg_u32 s15, s20
	v_or_b32_e32 v23, v7, v23
	s_cbranch_scc1 .LBB3_1492
	s_branch .LBB3_1495
.LBB3_1493:                             ;   in Loop: Header=BB3_1450 Depth=1
                                        ; implicit-def: $vgpr22_vgpr23
                                        ; implicit-def: $sgpr22
	s_branch .LBB3_1496
.LBB3_1494:                             ;   in Loop: Header=BB3_1450 Depth=1
	v_mov_b32_e32 v22, 0
	v_mov_b32_e32 v23, 0
.LBB3_1495:                             ;   in Loop: Header=BB3_1450 Depth=1
	s_mov_b32 s22, 0
	s_cbranch_execnz .LBB3_1497
.LBB3_1496:                             ;   in Loop: Header=BB3_1450 Depth=1
	global_load_dwordx2 v[22:23], v3, s[4:5]
	s_add_i32 s22, s15, -8
	s_add_u32 s4, s4, 8
	s_addc_u32 s5, s5, 0
.LBB3_1497:                             ;   in Loop: Header=BB3_1450 Depth=1
	s_cmp_gt_u32 s22, 7
	s_cbranch_scc1 .LBB3_1501
; %bb.1498:                             ;   in Loop: Header=BB3_1450 Depth=1
	s_cmp_eq_u32 s22, 0
	s_cbranch_scc1 .LBB3_1502
; %bb.1499:                             ;   in Loop: Header=BB3_1450 Depth=1
	v_mov_b32_e32 v24, 0
	s_mov_b64 s[18:19], 0
	v_mov_b32_e32 v25, 0
	s_mov_b64 s[20:21], s[4:5]
.LBB3_1500:                             ;   Parent Loop BB3_1450 Depth=1
                                        ; =>  This Inner Loop Header: Depth=2
	global_load_ubyte v2, v3, s[20:21]
	s_add_i32 s22, s22, -1
	s_waitcnt vmcnt(0)
	v_and_b32_e32 v2, 0xffff, v2
	v_lshlrev_b64 v[6:7], s18, v[2:3]
	s_add_u32 s18, s18, 8
	s_addc_u32 s19, s19, 0
	s_add_u32 s20, s20, 1
	s_addc_u32 s21, s21, 0
	v_or_b32_e32 v24, v6, v24
	s_cmp_lg_u32 s22, 0
	v_or_b32_e32 v25, v7, v25
	s_cbranch_scc1 .LBB3_1500
	s_branch .LBB3_1503
.LBB3_1501:                             ;   in Loop: Header=BB3_1450 Depth=1
	s_branch .LBB3_1504
.LBB3_1502:                             ;   in Loop: Header=BB3_1450 Depth=1
	v_mov_b32_e32 v24, 0
	v_mov_b32_e32 v25, 0
.LBB3_1503:                             ;   in Loop: Header=BB3_1450 Depth=1
	s_cbranch_execnz .LBB3_1505
.LBB3_1504:                             ;   in Loop: Header=BB3_1450 Depth=1
	global_load_dwordx2 v[24:25], v3, s[4:5]
.LBB3_1505:                             ;   in Loop: Header=BB3_1450 Depth=1
	v_readfirstlane_b32 s4, v51
	v_mov_b32_e32 v6, 0
	v_mov_b32_e32 v7, 0
	v_cmp_eq_u32_e64 s[4:5], s4, v51
	s_and_saveexec_b64 s[18:19], s[4:5]
	s_cbranch_execz .LBB3_1511
; %bb.1506:                             ;   in Loop: Header=BB3_1450 Depth=1
	global_load_dwordx2 v[28:29], v3, s[44:45] offset:24 glc
	s_waitcnt vmcnt(0)
	buffer_wbinvl1_vol
	global_load_dwordx2 v[6:7], v3, s[44:45] offset:40
	global_load_dwordx2 v[26:27], v3, s[44:45]
	s_waitcnt vmcnt(1)
	v_and_b32_e32 v2, v6, v28
	v_and_b32_e32 v6, v7, v29
	v_mul_lo_u32 v6, v6, 24
	v_mul_hi_u32 v7, v2, 24
	v_mul_lo_u32 v2, v2, 24
	v_add_u32_e32 v7, v7, v6
	s_waitcnt vmcnt(0)
	v_add_co_u32_e32 v6, vcc, v26, v2
	v_addc_co_u32_e32 v7, vcc, v27, v7, vcc
	global_load_dwordx2 v[26:27], v[6:7], off glc
	s_waitcnt vmcnt(0)
	global_atomic_cmpswap_x2 v[6:7], v3, v[26:29], s[44:45] offset:24 glc
	s_waitcnt vmcnt(0)
	buffer_wbinvl1_vol
	v_cmp_ne_u64_e32 vcc, v[6:7], v[28:29]
	s_and_saveexec_b64 s[20:21], vcc
	s_cbranch_execz .LBB3_1510
; %bb.1507:                             ;   in Loop: Header=BB3_1450 Depth=1
	s_mov_b64 s[22:23], 0
.LBB3_1508:                             ;   Parent Loop BB3_1450 Depth=1
                                        ; =>  This Inner Loop Header: Depth=2
	s_sleep 1
	global_load_dwordx2 v[26:27], v3, s[44:45] offset:40
	global_load_dwordx2 v[30:31], v3, s[44:45]
	v_mov_b32_e32 v29, v7
	v_mov_b32_e32 v28, v6
	s_waitcnt vmcnt(1)
	v_and_b32_e32 v2, v26, v28
	s_waitcnt vmcnt(0)
	v_mad_u64_u32 v[6:7], s[24:25], v2, 24, v[30:31]
	v_and_b32_e32 v26, v27, v29
	v_mov_b32_e32 v2, v7
	v_mad_u64_u32 v[26:27], s[24:25], v26, 24, v[2:3]
	v_mov_b32_e32 v7, v26
	global_load_dwordx2 v[26:27], v[6:7], off glc
	s_waitcnt vmcnt(0)
	global_atomic_cmpswap_x2 v[6:7], v3, v[26:29], s[44:45] offset:24 glc
	s_waitcnt vmcnt(0)
	buffer_wbinvl1_vol
	v_cmp_eq_u64_e32 vcc, v[6:7], v[28:29]
	s_or_b64 s[22:23], vcc, s[22:23]
	s_andn2_b64 exec, exec, s[22:23]
	s_cbranch_execnz .LBB3_1508
; %bb.1509:                             ;   in Loop: Header=BB3_1450 Depth=1
	s_or_b64 exec, exec, s[22:23]
.LBB3_1510:                             ;   in Loop: Header=BB3_1450 Depth=1
	s_or_b64 exec, exec, s[20:21]
.LBB3_1511:                             ;   in Loop: Header=BB3_1450 Depth=1
	s_or_b64 exec, exec, s[18:19]
	global_load_dwordx2 v[30:31], v3, s[44:45] offset:40
	global_load_dwordx4 v[26:29], v3, s[44:45]
	v_readfirstlane_b32 s18, v6
	v_readfirstlane_b32 s19, v7
	s_mov_b64 s[20:21], exec
	s_waitcnt vmcnt(1)
	v_readfirstlane_b32 s22, v30
	v_readfirstlane_b32 s23, v31
	s_and_b64 s[22:23], s[18:19], s[22:23]
	s_mul_i32 s15, s23, 24
	s_mul_hi_u32 s24, s22, 24
	s_mul_i32 s25, s22, 24
	s_add_i32 s15, s24, s15
	v_mov_b32_e32 v2, s15
	s_waitcnt vmcnt(0)
	v_add_co_u32_e32 v30, vcc, s25, v26
	v_addc_co_u32_e32 v31, vcc, v27, v2, vcc
	s_and_saveexec_b64 s[24:25], s[4:5]
	s_cbranch_execz .LBB3_1513
; %bb.1512:                             ;   in Loop: Header=BB3_1450 Depth=1
	v_mov_b32_e32 v6, s20
	v_mov_b32_e32 v7, s21
	global_store_dwordx4 v[30:31], v[6:9], off offset:8
.LBB3_1513:                             ;   in Loop: Header=BB3_1450 Depth=1
	s_or_b64 exec, exec, s[24:25]
	s_lshl_b64 s[20:21], s[22:23], 12
	v_mov_b32_e32 v2, s21
	v_add_co_u32_e32 v28, vcc, s20, v28
	v_addc_co_u32_e32 v29, vcc, v29, v2, vcc
	v_cmp_gt_u64_e64 vcc, s[10:11], 56
	v_or_b32_e32 v2, 2, v10
	s_lshl_b32 s15, s16, 2
	v_cndmask_b32_e32 v2, v2, v10, vcc
	s_add_i32 s15, s15, 28
	s_and_b32 s15, s15, 0x1e0
	v_and_b32_e32 v2, 0xffffff1f, v2
	v_or_b32_e32 v10, s15, v2
	v_readfirstlane_b32 s20, v28
	v_readfirstlane_b32 s21, v29
	s_nop 4
	global_store_dwordx4 v50, v[10:13], s[20:21]
	global_store_dwordx4 v50, v[14:17], s[20:21] offset:16
	global_store_dwordx4 v50, v[18:21], s[20:21] offset:32
	;; [unrolled: 1-line block ×3, first 2 shown]
	s_and_saveexec_b64 s[20:21], s[4:5]
	s_cbranch_execz .LBB3_1521
; %bb.1514:                             ;   in Loop: Header=BB3_1450 Depth=1
	global_load_dwordx2 v[14:15], v3, s[44:45] offset:32 glc
	global_load_dwordx2 v[6:7], v3, s[44:45] offset:40
	v_mov_b32_e32 v12, s18
	v_mov_b32_e32 v13, s19
	s_waitcnt vmcnt(0)
	v_readfirstlane_b32 s22, v6
	v_readfirstlane_b32 s23, v7
	s_and_b64 s[22:23], s[22:23], s[18:19]
	s_mul_i32 s15, s23, 24
	s_mul_hi_u32 s23, s22, 24
	s_mul_i32 s22, s22, 24
	s_add_i32 s15, s23, s15
	v_mov_b32_e32 v2, s15
	v_add_co_u32_e32 v6, vcc, s22, v26
	v_addc_co_u32_e32 v7, vcc, v27, v2, vcc
	global_store_dwordx2 v[6:7], v[14:15], off
	s_waitcnt vmcnt(0)
	global_atomic_cmpswap_x2 v[12:13], v3, v[12:15], s[44:45] offset:32 glc
	s_waitcnt vmcnt(0)
	v_cmp_ne_u64_e32 vcc, v[12:13], v[14:15]
	s_and_saveexec_b64 s[22:23], vcc
	s_cbranch_execz .LBB3_1517
; %bb.1515:                             ;   in Loop: Header=BB3_1450 Depth=1
	s_mov_b64 s[24:25], 0
.LBB3_1516:                             ;   Parent Loop BB3_1450 Depth=1
                                        ; =>  This Inner Loop Header: Depth=2
	s_sleep 1
	global_store_dwordx2 v[6:7], v[12:13], off
	v_mov_b32_e32 v10, s18
	v_mov_b32_e32 v11, s19
	s_waitcnt vmcnt(0)
	global_atomic_cmpswap_x2 v[10:11], v3, v[10:13], s[44:45] offset:32 glc
	s_waitcnt vmcnt(0)
	v_cmp_eq_u64_e32 vcc, v[10:11], v[12:13]
	v_mov_b32_e32 v13, v11
	s_or_b64 s[24:25], vcc, s[24:25]
	v_mov_b32_e32 v12, v10
	s_andn2_b64 exec, exec, s[24:25]
	s_cbranch_execnz .LBB3_1516
.LBB3_1517:                             ;   in Loop: Header=BB3_1450 Depth=1
	s_or_b64 exec, exec, s[22:23]
	global_load_dwordx2 v[6:7], v3, s[44:45] offset:16
	s_mov_b64 s[24:25], exec
	v_mbcnt_lo_u32_b32 v2, s24, 0
	v_mbcnt_hi_u32_b32 v2, s25, v2
	v_cmp_eq_u32_e32 vcc, 0, v2
	s_and_saveexec_b64 s[22:23], vcc
	s_cbranch_execz .LBB3_1519
; %bb.1518:                             ;   in Loop: Header=BB3_1450 Depth=1
	s_bcnt1_i32_b64 s15, s[24:25]
	v_mov_b32_e32 v2, s15
	s_waitcnt vmcnt(0)
	global_atomic_add_x2 v[6:7], v[2:3], off offset:8
.LBB3_1519:                             ;   in Loop: Header=BB3_1450 Depth=1
	s_or_b64 exec, exec, s[22:23]
	s_waitcnt vmcnt(0)
	global_load_dwordx2 v[10:11], v[6:7], off offset:16
	s_waitcnt vmcnt(0)
	v_cmp_eq_u64_e32 vcc, 0, v[10:11]
	s_cbranch_vccnz .LBB3_1521
; %bb.1520:                             ;   in Loop: Header=BB3_1450 Depth=1
	global_load_dword v2, v[6:7], off offset:24
	s_waitcnt vmcnt(0)
	global_store_dwordx2 v[10:11], v[2:3], off
	v_and_b32_e32 v2, 0xffffff, v2
	v_readfirstlane_b32 m0, v2
	s_sendmsg sendmsg(MSG_INTERRUPT)
.LBB3_1521:                             ;   in Loop: Header=BB3_1450 Depth=1
	s_or_b64 exec, exec, s[20:21]
	v_add_co_u32_e32 v6, vcc, v28, v50
	v_addc_co_u32_e32 v7, vcc, 0, v29, vcc
	s_branch .LBB3_1525
.LBB3_1522:                             ;   in Loop: Header=BB3_1525 Depth=2
	s_or_b64 exec, exec, s[20:21]
	v_readfirstlane_b32 s15, v2
	s_cmp_eq_u32 s15, 0
	s_cbranch_scc1 .LBB3_1524
; %bb.1523:                             ;   in Loop: Header=BB3_1525 Depth=2
	s_sleep 1
	s_cbranch_execnz .LBB3_1525
	s_branch .LBB3_1527
.LBB3_1524:                             ;   in Loop: Header=BB3_1450 Depth=1
	s_branch .LBB3_1527
.LBB3_1525:                             ;   Parent Loop BB3_1450 Depth=1
                                        ; =>  This Inner Loop Header: Depth=2
	v_mov_b32_e32 v2, 1
	s_and_saveexec_b64 s[20:21], s[4:5]
	s_cbranch_execz .LBB3_1522
; %bb.1526:                             ;   in Loop: Header=BB3_1525 Depth=2
	global_load_dword v2, v[30:31], off offset:20 glc
	s_waitcnt vmcnt(0)
	buffer_wbinvl1_vol
	v_and_b32_e32 v2, 1, v2
	s_branch .LBB3_1522
.LBB3_1527:                             ;   in Loop: Header=BB3_1450 Depth=1
	global_load_dwordx4 v[10:13], v[6:7], off
	s_and_saveexec_b64 s[20:21], s[4:5]
	s_cbranch_execz .LBB3_1449
; %bb.1528:                             ;   in Loop: Header=BB3_1450 Depth=1
	global_load_dwordx2 v[6:7], v3, s[44:45] offset:40
	global_load_dwordx2 v[16:17], v3, s[44:45] offset:24 glc
	global_load_dwordx2 v[18:19], v3, s[44:45]
	v_mov_b32_e32 v2, s19
	s_waitcnt vmcnt(2)
	v_add_co_u32_e32 v14, vcc, 1, v6
	v_addc_co_u32_e32 v15, vcc, 0, v7, vcc
	v_add_co_u32_e32 v12, vcc, s18, v14
	v_addc_co_u32_e32 v13, vcc, v15, v2, vcc
	v_cmp_eq_u64_e32 vcc, 0, v[12:13]
	v_cndmask_b32_e32 v13, v13, v15, vcc
	v_cndmask_b32_e32 v12, v12, v14, vcc
	v_and_b32_e32 v2, v13, v7
	v_and_b32_e32 v6, v12, v6
	v_mul_lo_u32 v2, v2, 24
	v_mul_hi_u32 v7, v6, 24
	v_mul_lo_u32 v6, v6, 24
	s_waitcnt vmcnt(1)
	v_mov_b32_e32 v14, v16
	v_mov_b32_e32 v15, v17
	v_add_u32_e32 v2, v7, v2
	s_waitcnt vmcnt(0)
	v_add_co_u32_e32 v6, vcc, v18, v6
	v_addc_co_u32_e32 v7, vcc, v19, v2, vcc
	global_store_dwordx2 v[6:7], v[16:17], off
	s_waitcnt vmcnt(0)
	global_atomic_cmpswap_x2 v[14:15], v3, v[12:15], s[44:45] offset:24 glc
	s_waitcnt vmcnt(0)
	v_cmp_ne_u64_e32 vcc, v[14:15], v[16:17]
	s_and_b64 exec, exec, vcc
	s_cbranch_execz .LBB3_1449
; %bb.1529:                             ;   in Loop: Header=BB3_1450 Depth=1
	s_mov_b64 s[4:5], 0
.LBB3_1530:                             ;   Parent Loop BB3_1450 Depth=1
                                        ; =>  This Inner Loop Header: Depth=2
	s_sleep 1
	global_store_dwordx2 v[6:7], v[14:15], off
	s_waitcnt vmcnt(0)
	global_atomic_cmpswap_x2 v[16:17], v3, v[12:15], s[44:45] offset:24 glc
	s_waitcnt vmcnt(0)
	v_cmp_eq_u64_e32 vcc, v[16:17], v[14:15]
	v_mov_b32_e32 v14, v16
	s_or_b64 s[4:5], vcc, s[4:5]
	v_mov_b32_e32 v15, v17
	s_andn2_b64 exec, exec, s[4:5]
	s_cbranch_execnz .LBB3_1530
	s_branch .LBB3_1449
.LBB3_1531:
	s_mov_b64 s[4:5], 0
	s_branch .LBB3_1533
.LBB3_1532:
	s_mov_b64 s[4:5], -1
.LBB3_1533:
	s_mov_b32 s48, s12
	s_mov_b32 s49, s13
	;; [unrolled: 1-line block ×3, first 2 shown]
	s_and_b64 vcc, exec, s[4:5]
	s_cbranch_vccz .LBB3_1560
; %bb.1534:
	v_readfirstlane_b32 s4, v51
	s_waitcnt vmcnt(0)
	v_mov_b32_e32 v10, 0
	v_mov_b32_e32 v11, 0
	v_cmp_eq_u32_e64 s[4:5], s4, v51
	s_and_saveexec_b64 s[6:7], s[4:5]
	s_cbranch_execz .LBB3_1540
; %bb.1535:
	v_mov_b32_e32 v2, 0
	global_load_dwordx2 v[8:9], v2, s[44:45] offset:24 glc
	s_waitcnt vmcnt(0)
	buffer_wbinvl1_vol
	global_load_dwordx2 v[6:7], v2, s[44:45] offset:40
	global_load_dwordx2 v[10:11], v2, s[44:45]
	s_waitcnt vmcnt(1)
	v_and_b32_e32 v3, v6, v8
	v_and_b32_e32 v6, v7, v9
	v_mul_lo_u32 v6, v6, 24
	v_mul_hi_u32 v7, v3, 24
	v_mul_lo_u32 v3, v3, 24
	v_add_u32_e32 v7, v7, v6
	s_waitcnt vmcnt(0)
	v_add_co_u32_e32 v6, vcc, v10, v3
	v_addc_co_u32_e32 v7, vcc, v11, v7, vcc
	global_load_dwordx2 v[6:7], v[6:7], off glc
	s_waitcnt vmcnt(0)
	global_atomic_cmpswap_x2 v[10:11], v2, v[6:9], s[44:45] offset:24 glc
	s_waitcnt vmcnt(0)
	buffer_wbinvl1_vol
	v_cmp_ne_u64_e32 vcc, v[10:11], v[8:9]
	s_and_saveexec_b64 s[10:11], vcc
	s_cbranch_execz .LBB3_1539
; %bb.1536:
	s_mov_b64 s[12:13], 0
.LBB3_1537:                             ; =>This Inner Loop Header: Depth=1
	s_sleep 1
	global_load_dwordx2 v[6:7], v2, s[44:45] offset:40
	global_load_dwordx2 v[12:13], v2, s[44:45]
	v_mov_b32_e32 v8, v10
	v_mov_b32_e32 v9, v11
	s_waitcnt vmcnt(1)
	v_and_b32_e32 v3, v6, v8
	s_waitcnt vmcnt(0)
	v_mad_u64_u32 v[10:11], s[14:15], v3, 24, v[12:13]
	v_and_b32_e32 v6, v7, v9
	v_mov_b32_e32 v3, v11
	v_mad_u64_u32 v[6:7], s[14:15], v6, 24, v[3:4]
	v_mov_b32_e32 v11, v6
	global_load_dwordx2 v[6:7], v[10:11], off glc
	s_waitcnt vmcnt(0)
	global_atomic_cmpswap_x2 v[10:11], v2, v[6:9], s[44:45] offset:24 glc
	s_waitcnt vmcnt(0)
	buffer_wbinvl1_vol
	v_cmp_eq_u64_e32 vcc, v[10:11], v[8:9]
	s_or_b64 s[12:13], vcc, s[12:13]
	s_andn2_b64 exec, exec, s[12:13]
	s_cbranch_execnz .LBB3_1537
; %bb.1538:
	s_or_b64 exec, exec, s[12:13]
.LBB3_1539:
	s_or_b64 exec, exec, s[10:11]
.LBB3_1540:
	s_or_b64 exec, exec, s[6:7]
	v_mov_b32_e32 v2, 0
	global_load_dwordx2 v[12:13], v2, s[44:45] offset:40
	global_load_dwordx4 v[6:9], v2, s[44:45]
	v_readfirstlane_b32 s6, v10
	v_readfirstlane_b32 s7, v11
	s_mov_b64 s[10:11], exec
	s_waitcnt vmcnt(1)
	v_readfirstlane_b32 s12, v12
	v_readfirstlane_b32 s13, v13
	s_and_b64 s[12:13], s[6:7], s[12:13]
	s_mul_i32 s14, s13, 24
	s_mul_hi_u32 s15, s12, 24
	s_mul_i32 s16, s12, 24
	s_add_i32 s14, s15, s14
	v_mov_b32_e32 v3, s14
	s_waitcnt vmcnt(0)
	v_add_co_u32_e32 v10, vcc, s16, v6
	v_addc_co_u32_e32 v11, vcc, v7, v3, vcc
	s_and_saveexec_b64 s[14:15], s[4:5]
	s_cbranch_execz .LBB3_1542
; %bb.1541:
	v_mov_b32_e32 v13, s11
	v_mov_b32_e32 v12, s10
	;; [unrolled: 1-line block ×4, first 2 shown]
	global_store_dwordx4 v[10:11], v[12:15], off offset:8
.LBB3_1542:
	s_or_b64 exec, exec, s[14:15]
	s_lshl_b64 s[10:11], s[12:13], 12
	v_mov_b32_e32 v3, s11
	v_add_co_u32_e32 v8, vcc, s10, v8
	v_addc_co_u32_e32 v9, vcc, v9, v3, vcc
	s_movk_i32 s10, 0xff1d
	v_and_or_b32 v0, v0, s10, 34
	s_mov_b32 s12, 0
	v_mov_b32_e32 v3, v2
	v_readfirstlane_b32 s10, v8
	v_readfirstlane_b32 s11, v9
	s_mov_b32 s13, s12
	s_mov_b32 s14, s12
	;; [unrolled: 1-line block ×3, first 2 shown]
	s_nop 1
	global_store_dwordx4 v50, v[0:3], s[10:11]
	s_nop 0
	v_mov_b32_e32 v0, s12
	v_mov_b32_e32 v1, s13
	;; [unrolled: 1-line block ×4, first 2 shown]
	global_store_dwordx4 v50, v[0:3], s[10:11] offset:16
	global_store_dwordx4 v50, v[0:3], s[10:11] offset:32
	;; [unrolled: 1-line block ×3, first 2 shown]
	s_and_saveexec_b64 s[10:11], s[4:5]
	s_cbranch_execz .LBB3_1550
; %bb.1543:
	v_mov_b32_e32 v8, 0
	global_load_dwordx2 v[14:15], v8, s[44:45] offset:32 glc
	global_load_dwordx2 v[0:1], v8, s[44:45] offset:40
	v_mov_b32_e32 v12, s6
	v_mov_b32_e32 v13, s7
	s_waitcnt vmcnt(0)
	v_readfirstlane_b32 s12, v0
	v_readfirstlane_b32 s13, v1
	s_and_b64 s[12:13], s[12:13], s[6:7]
	s_mul_i32 s13, s13, 24
	s_mul_hi_u32 s14, s12, 24
	s_mul_i32 s12, s12, 24
	s_add_i32 s13, s14, s13
	v_mov_b32_e32 v0, s13
	v_add_co_u32_e32 v6, vcc, s12, v6
	v_addc_co_u32_e32 v7, vcc, v7, v0, vcc
	global_store_dwordx2 v[6:7], v[14:15], off
	s_waitcnt vmcnt(0)
	global_atomic_cmpswap_x2 v[2:3], v8, v[12:15], s[44:45] offset:32 glc
	s_waitcnt vmcnt(0)
	v_cmp_ne_u64_e32 vcc, v[2:3], v[14:15]
	s_and_saveexec_b64 s[12:13], vcc
	s_cbranch_execz .LBB3_1546
; %bb.1544:
	s_mov_b64 s[14:15], 0
.LBB3_1545:                             ; =>This Inner Loop Header: Depth=1
	s_sleep 1
	global_store_dwordx2 v[6:7], v[2:3], off
	v_mov_b32_e32 v0, s6
	v_mov_b32_e32 v1, s7
	s_waitcnt vmcnt(0)
	global_atomic_cmpswap_x2 v[0:1], v8, v[0:3], s[44:45] offset:32 glc
	s_waitcnt vmcnt(0)
	v_cmp_eq_u64_e32 vcc, v[0:1], v[2:3]
	v_mov_b32_e32 v3, v1
	s_or_b64 s[14:15], vcc, s[14:15]
	v_mov_b32_e32 v2, v0
	s_andn2_b64 exec, exec, s[14:15]
	s_cbranch_execnz .LBB3_1545
.LBB3_1546:
	s_or_b64 exec, exec, s[12:13]
	v_mov_b32_e32 v3, 0
	global_load_dwordx2 v[0:1], v3, s[44:45] offset:16
	s_mov_b64 s[12:13], exec
	v_mbcnt_lo_u32_b32 v2, s12, 0
	v_mbcnt_hi_u32_b32 v2, s13, v2
	v_cmp_eq_u32_e32 vcc, 0, v2
	s_and_saveexec_b64 s[14:15], vcc
	s_cbranch_execz .LBB3_1548
; %bb.1547:
	s_bcnt1_i32_b64 s12, s[12:13]
	v_mov_b32_e32 v2, s12
	s_waitcnt vmcnt(0)
	global_atomic_add_x2 v[0:1], v[2:3], off offset:8
.LBB3_1548:
	s_or_b64 exec, exec, s[14:15]
	s_waitcnt vmcnt(0)
	global_load_dwordx2 v[2:3], v[0:1], off offset:16
	s_waitcnt vmcnt(0)
	v_cmp_eq_u64_e32 vcc, 0, v[2:3]
	s_cbranch_vccnz .LBB3_1550
; %bb.1549:
	global_load_dword v0, v[0:1], off offset:24
	v_mov_b32_e32 v1, 0
	s_waitcnt vmcnt(0)
	global_store_dwordx2 v[2:3], v[0:1], off
	v_and_b32_e32 v0, 0xffffff, v0
	v_readfirstlane_b32 m0, v0
	s_sendmsg sendmsg(MSG_INTERRUPT)
.LBB3_1550:
	s_or_b64 exec, exec, s[10:11]
	s_branch .LBB3_1554
.LBB3_1551:                             ;   in Loop: Header=BB3_1554 Depth=1
	s_or_b64 exec, exec, s[10:11]
	v_readfirstlane_b32 s10, v0
	s_cmp_eq_u32 s10, 0
	s_cbranch_scc1 .LBB3_1553
; %bb.1552:                             ;   in Loop: Header=BB3_1554 Depth=1
	s_sleep 1
	s_cbranch_execnz .LBB3_1554
	s_branch .LBB3_1556
.LBB3_1553:
	s_branch .LBB3_1556
.LBB3_1554:                             ; =>This Inner Loop Header: Depth=1
	v_mov_b32_e32 v0, 1
	s_and_saveexec_b64 s[10:11], s[4:5]
	s_cbranch_execz .LBB3_1551
; %bb.1555:                             ;   in Loop: Header=BB3_1554 Depth=1
	global_load_dword v0, v[10:11], off offset:20 glc
	s_waitcnt vmcnt(0)
	buffer_wbinvl1_vol
	v_and_b32_e32 v0, 1, v0
	s_branch .LBB3_1551
.LBB3_1556:
	s_and_saveexec_b64 s[10:11], s[4:5]
	s_cbranch_execz .LBB3_1559
; %bb.1557:
	v_mov_b32_e32 v8, 0
	global_load_dwordx2 v[2:3], v8, s[44:45] offset:40
	global_load_dwordx2 v[9:10], v8, s[44:45] offset:24 glc
	global_load_dwordx2 v[6:7], v8, s[44:45]
	v_mov_b32_e32 v1, s7
	s_mov_b64 s[4:5], 0
	s_waitcnt vmcnt(2)
	v_add_co_u32_e32 v11, vcc, 1, v2
	v_addc_co_u32_e32 v12, vcc, 0, v3, vcc
	v_add_co_u32_e32 v0, vcc, s6, v11
	v_addc_co_u32_e32 v1, vcc, v12, v1, vcc
	v_cmp_eq_u64_e32 vcc, 0, v[0:1]
	v_cndmask_b32_e32 v1, v1, v12, vcc
	v_cndmask_b32_e32 v0, v0, v11, vcc
	v_and_b32_e32 v3, v1, v3
	v_and_b32_e32 v2, v0, v2
	v_mul_lo_u32 v3, v3, 24
	v_mul_hi_u32 v11, v2, 24
	v_mul_lo_u32 v12, v2, 24
	s_waitcnt vmcnt(1)
	v_mov_b32_e32 v2, v9
	v_add_u32_e32 v3, v11, v3
	s_waitcnt vmcnt(0)
	v_add_co_u32_e32 v6, vcc, v6, v12
	v_addc_co_u32_e32 v7, vcc, v7, v3, vcc
	global_store_dwordx2 v[6:7], v[9:10], off
	v_mov_b32_e32 v3, v10
	s_waitcnt vmcnt(0)
	global_atomic_cmpswap_x2 v[2:3], v8, v[0:3], s[44:45] offset:24 glc
	s_waitcnt vmcnt(0)
	v_cmp_ne_u64_e32 vcc, v[2:3], v[9:10]
	s_and_b64 exec, exec, vcc
	s_cbranch_execz .LBB3_1559
.LBB3_1558:                             ; =>This Inner Loop Header: Depth=1
	s_sleep 1
	global_store_dwordx2 v[6:7], v[2:3], off
	s_waitcnt vmcnt(0)
	global_atomic_cmpswap_x2 v[9:10], v8, v[0:3], s[44:45] offset:24 glc
	s_waitcnt vmcnt(0)
	v_cmp_eq_u64_e32 vcc, v[9:10], v[2:3]
	v_mov_b32_e32 v2, v9
	s_or_b64 s[4:5], vcc, s[4:5]
	v_mov_b32_e32 v3, v10
	s_andn2_b64 exec, exec, s[4:5]
	s_cbranch_execnz .LBB3_1558
.LBB3_1559:
	s_or_b64 exec, exec, s[10:11]
.LBB3_1560:
	s_waitcnt vmcnt(0)
	v_mov_b32_e32 v0, v4
	v_mov_b32_e32 v1, v5
	s_getpc_b64 s[52:53]
	s_add_u32 s52, s52, _ZNK8migraphx13basic_printerIZNS_4coutEvEUlT_E_ElsEPKc@rel32@lo+4
	s_addc_u32 s53, s53, _ZNK8migraphx13basic_printerIZNS_4coutEvEUlT_E_ElsEPKc@rel32@hi+12
	s_mov_b64 s[38:39], s[8:9]
	s_swappc_b64 s[30:31], s[52:53]
	s_getpc_b64 s[4:5]
	s_add_u32 s4, s4, .str.3@rel32@lo+4
	s_addc_u32 s5, s5, .str.3@rel32@hi+12
	s_mov_b64 s[8:9], s[38:39]
	v_mov_b32_e32 v0, s4
	v_mov_b32_e32 v1, s5
	s_swappc_b64 s[30:31], s[52:53]
	s_mov_b64 s[8:9], s[38:39]
	v_mov_b32_e32 v0, v36
	v_mov_b32_e32 v1, v37
	s_getpc_b64 s[4:5]
	s_add_u32 s4, s4, _ZN8migraphx4testlsIKNS_13basic_printerIZNS_4coutEvEUlT_E_EEEERS3_S7_RKNS0_10expressionINS0_14lhs_expressionIRiNS0_3nopEEEiNS0_5equalEEE@rel32@lo+4
	s_addc_u32 s5, s5, _ZN8migraphx4testlsIKNS_13basic_printerIZNS_4coutEvEUlT_E_EEEERS3_S7_RKNS0_10expressionINS0_14lhs_expressionIRiNS0_3nopEEEiNS0_5equalEEE@rel32@hi+12
	s_swappc_b64 s[30:31], s[4:5]
	s_getpc_b64 s[4:5]
	s_add_u32 s4, s4, .str.4@rel32@lo+4
	s_addc_u32 s5, s5, .str.4@rel32@hi+12
	s_mov_b64 s[8:9], s[38:39]
	v_mov_b32_e32 v0, s4
	v_mov_b32_e32 v1, s5
	s_mov_b64 s[24:25], s[38:39]
	s_swappc_b64 s[30:31], s[52:53]
	v_readfirstlane_b32 s4, v51
	v_mov_b32_e32 v5, 0
	v_mov_b32_e32 v6, 0
	v_cmp_eq_u32_e64 s[4:5], s4, v51
	s_and_saveexec_b64 s[6:7], s[4:5]
	s_mov_b32 s14, s50
	s_mov_b32 s13, s49
	s_mov_b32 s12, s48
	s_cbranch_execz .LBB3_1566
; %bb.1561:
	v_mov_b32_e32 v0, 0
	global_load_dwordx2 v[3:4], v0, s[44:45] offset:24 glc
	s_waitcnt vmcnt(0)
	buffer_wbinvl1_vol
	global_load_dwordx2 v[1:2], v0, s[44:45] offset:40
	global_load_dwordx2 v[5:6], v0, s[44:45]
	s_waitcnt vmcnt(1)
	v_and_b32_e32 v1, v1, v3
	v_and_b32_e32 v2, v2, v4
	v_mul_lo_u32 v2, v2, 24
	v_mul_hi_u32 v7, v1, 24
	v_mul_lo_u32 v1, v1, 24
	v_add_u32_e32 v2, v7, v2
	s_waitcnt vmcnt(0)
	v_add_co_u32_e32 v1, vcc, v5, v1
	v_addc_co_u32_e32 v2, vcc, v6, v2, vcc
	global_load_dwordx2 v[1:2], v[1:2], off glc
	s_waitcnt vmcnt(0)
	global_atomic_cmpswap_x2 v[5:6], v0, v[1:4], s[44:45] offset:24 glc
	s_waitcnt vmcnt(0)
	buffer_wbinvl1_vol
	v_cmp_ne_u64_e32 vcc, v[5:6], v[3:4]
	s_and_saveexec_b64 s[8:9], vcc
	s_cbranch_execz .LBB3_1565
; %bb.1562:
	s_mov_b64 s[10:11], 0
.LBB3_1563:                             ; =>This Inner Loop Header: Depth=1
	s_sleep 1
	global_load_dwordx2 v[1:2], v0, s[44:45] offset:40
	global_load_dwordx2 v[7:8], v0, s[44:45]
	v_mov_b32_e32 v3, v5
	v_mov_b32_e32 v4, v6
	s_waitcnt vmcnt(1)
	v_and_b32_e32 v1, v1, v3
	s_waitcnt vmcnt(0)
	v_mad_u64_u32 v[5:6], s[16:17], v1, 24, v[7:8]
	v_and_b32_e32 v2, v2, v4
	v_mov_b32_e32 v1, v6
	v_mad_u64_u32 v[1:2], s[16:17], v2, 24, v[1:2]
	v_mov_b32_e32 v6, v1
	global_load_dwordx2 v[1:2], v[5:6], off glc
	s_waitcnt vmcnt(0)
	global_atomic_cmpswap_x2 v[5:6], v0, v[1:4], s[44:45] offset:24 glc
	s_waitcnt vmcnt(0)
	buffer_wbinvl1_vol
	v_cmp_eq_u64_e32 vcc, v[5:6], v[3:4]
	s_or_b64 s[10:11], vcc, s[10:11]
	s_andn2_b64 exec, exec, s[10:11]
	s_cbranch_execnz .LBB3_1563
; %bb.1564:
	s_or_b64 exec, exec, s[10:11]
.LBB3_1565:
	s_or_b64 exec, exec, s[8:9]
.LBB3_1566:
	s_or_b64 exec, exec, s[6:7]
	v_mov_b32_e32 v4, 0
	global_load_dwordx2 v[7:8], v4, s[44:45] offset:40
	global_load_dwordx4 v[0:3], v4, s[44:45]
	v_readfirstlane_b32 s6, v5
	v_readfirstlane_b32 s7, v6
	s_mov_b64 s[8:9], exec
	s_waitcnt vmcnt(1)
	v_readfirstlane_b32 s10, v7
	v_readfirstlane_b32 s11, v8
	s_and_b64 s[10:11], s[6:7], s[10:11]
	s_mul_i32 s15, s11, 24
	s_mul_hi_u32 s16, s10, 24
	s_mul_i32 s17, s10, 24
	s_add_i32 s15, s16, s15
	v_mov_b32_e32 v5, s15
	s_waitcnt vmcnt(0)
	v_add_co_u32_e32 v7, vcc, s17, v0
	v_addc_co_u32_e32 v8, vcc, v1, v5, vcc
	s_and_saveexec_b64 s[16:17], s[4:5]
	s_cbranch_execz .LBB3_1568
; %bb.1567:
	v_mov_b32_e32 v10, s9
	v_mov_b32_e32 v9, s8
	;; [unrolled: 1-line block ×4, first 2 shown]
	global_store_dwordx4 v[7:8], v[9:12], off offset:8
.LBB3_1568:
	s_or_b64 exec, exec, s[16:17]
	s_lshl_b64 s[8:9], s[10:11], 12
	v_mov_b32_e32 v5, s9
	v_add_co_u32_e32 v2, vcc, s8, v2
	v_addc_co_u32_e32 v11, vcc, v3, v5, vcc
	s_mov_b32 s8, 0
	v_mov_b32_e32 v3, 33
	v_mov_b32_e32 v5, v4
	;; [unrolled: 1-line block ×3, first 2 shown]
	v_readfirstlane_b32 s16, v2
	v_readfirstlane_b32 s17, v11
	v_add_co_u32_e32 v9, vcc, v2, v50
	s_mov_b32 s9, s8
	s_mov_b32 s10, s8
	;; [unrolled: 1-line block ×3, first 2 shown]
	s_nop 0
	global_store_dwordx4 v50, v[3:6], s[16:17]
	v_mov_b32_e32 v2, s8
	v_addc_co_u32_e32 v10, vcc, 0, v11, vcc
	v_mov_b32_e32 v3, s9
	v_mov_b32_e32 v4, s10
	v_mov_b32_e32 v5, s11
	global_store_dwordx4 v50, v[2:5], s[16:17] offset:16
	global_store_dwordx4 v50, v[2:5], s[16:17] offset:32
	;; [unrolled: 1-line block ×3, first 2 shown]
	s_and_saveexec_b64 s[10:11], s[4:5]
	s_mov_b64 s[8:9], s[24:25]
	s_cbranch_execz .LBB3_1576
; %bb.1569:
	v_mov_b32_e32 v6, 0
	global_load_dwordx2 v[13:14], v6, s[44:45] offset:32 glc
	global_load_dwordx2 v[2:3], v6, s[44:45] offset:40
	v_mov_b32_e32 v11, s6
	v_mov_b32_e32 v12, s7
	s_waitcnt vmcnt(0)
	v_readfirstlane_b32 s16, v2
	v_readfirstlane_b32 s17, v3
	s_and_b64 s[16:17], s[16:17], s[6:7]
	s_mul_i32 s15, s17, 24
	s_mul_hi_u32 s17, s16, 24
	s_mul_i32 s16, s16, 24
	s_add_i32 s15, s17, s15
	v_mov_b32_e32 v2, s15
	v_add_co_u32_e32 v4, vcc, s16, v0
	v_addc_co_u32_e32 v5, vcc, v1, v2, vcc
	global_store_dwordx2 v[4:5], v[13:14], off
	s_waitcnt vmcnt(0)
	global_atomic_cmpswap_x2 v[2:3], v6, v[11:14], s[44:45] offset:32 glc
	s_waitcnt vmcnt(0)
	v_cmp_ne_u64_e32 vcc, v[2:3], v[13:14]
	s_and_saveexec_b64 s[16:17], vcc
	s_cbranch_execz .LBB3_1572
; %bb.1570:
	s_mov_b64 s[18:19], 0
.LBB3_1571:                             ; =>This Inner Loop Header: Depth=1
	s_sleep 1
	global_store_dwordx2 v[4:5], v[2:3], off
	v_mov_b32_e32 v0, s6
	v_mov_b32_e32 v1, s7
	s_waitcnt vmcnt(0)
	global_atomic_cmpswap_x2 v[0:1], v6, v[0:3], s[44:45] offset:32 glc
	s_waitcnt vmcnt(0)
	v_cmp_eq_u64_e32 vcc, v[0:1], v[2:3]
	v_mov_b32_e32 v3, v1
	s_or_b64 s[18:19], vcc, s[18:19]
	v_mov_b32_e32 v2, v0
	s_andn2_b64 exec, exec, s[18:19]
	s_cbranch_execnz .LBB3_1571
.LBB3_1572:
	s_or_b64 exec, exec, s[16:17]
	v_mov_b32_e32 v3, 0
	global_load_dwordx2 v[0:1], v3, s[44:45] offset:16
	s_mov_b64 s[16:17], exec
	v_mbcnt_lo_u32_b32 v2, s16, 0
	v_mbcnt_hi_u32_b32 v2, s17, v2
	v_cmp_eq_u32_e32 vcc, 0, v2
	s_and_saveexec_b64 s[18:19], vcc
	s_cbranch_execz .LBB3_1574
; %bb.1573:
	s_bcnt1_i32_b64 s15, s[16:17]
	v_mov_b32_e32 v2, s15
	s_waitcnt vmcnt(0)
	global_atomic_add_x2 v[0:1], v[2:3], off offset:8
.LBB3_1574:
	s_or_b64 exec, exec, s[18:19]
	s_waitcnt vmcnt(0)
	global_load_dwordx2 v[2:3], v[0:1], off offset:16
	s_waitcnt vmcnt(0)
	v_cmp_eq_u64_e32 vcc, 0, v[2:3]
	s_cbranch_vccnz .LBB3_1576
; %bb.1575:
	global_load_dword v0, v[0:1], off offset:24
	v_mov_b32_e32 v1, 0
	s_waitcnt vmcnt(0)
	global_store_dwordx2 v[2:3], v[0:1], off
	v_and_b32_e32 v0, 0xffffff, v0
	v_readfirstlane_b32 m0, v0
	s_sendmsg sendmsg(MSG_INTERRUPT)
.LBB3_1576:
	s_or_b64 exec, exec, s[10:11]
	s_branch .LBB3_1580
.LBB3_1577:                             ;   in Loop: Header=BB3_1580 Depth=1
	s_or_b64 exec, exec, s[10:11]
	v_readfirstlane_b32 s10, v0
	s_cmp_eq_u32 s10, 0
	s_cbranch_scc1 .LBB3_1579
; %bb.1578:                             ;   in Loop: Header=BB3_1580 Depth=1
	s_sleep 1
	s_cbranch_execnz .LBB3_1580
	s_branch .LBB3_1582
.LBB3_1579:
	s_branch .LBB3_1582
.LBB3_1580:                             ; =>This Inner Loop Header: Depth=1
	v_mov_b32_e32 v0, 1
	s_and_saveexec_b64 s[10:11], s[4:5]
	s_cbranch_execz .LBB3_1577
; %bb.1581:                             ;   in Loop: Header=BB3_1580 Depth=1
	global_load_dword v0, v[7:8], off offset:20 glc
	s_waitcnt vmcnt(0)
	buffer_wbinvl1_vol
	v_and_b32_e32 v0, 1, v0
	s_branch .LBB3_1577
.LBB3_1582:
	global_load_dwordx2 v[0:1], v[9:10], off
	s_and_saveexec_b64 s[10:11], s[4:5]
	s_cbranch_execz .LBB3_1585
; %bb.1583:
	v_mov_b32_e32 v8, 0
	global_load_dwordx2 v[4:5], v8, s[44:45] offset:40
	global_load_dwordx2 v[9:10], v8, s[44:45] offset:24 glc
	global_load_dwordx2 v[6:7], v8, s[44:45]
	v_mov_b32_e32 v3, s7
	s_mov_b64 s[4:5], 0
	s_waitcnt vmcnt(2)
	v_add_co_u32_e32 v11, vcc, 1, v4
	v_addc_co_u32_e32 v12, vcc, 0, v5, vcc
	v_add_co_u32_e32 v2, vcc, s6, v11
	v_addc_co_u32_e32 v3, vcc, v12, v3, vcc
	v_cmp_eq_u64_e32 vcc, 0, v[2:3]
	v_cndmask_b32_e32 v3, v3, v12, vcc
	v_cndmask_b32_e32 v2, v2, v11, vcc
	v_and_b32_e32 v5, v3, v5
	v_and_b32_e32 v4, v2, v4
	v_mul_lo_u32 v5, v5, 24
	v_mul_hi_u32 v11, v4, 24
	v_mul_lo_u32 v12, v4, 24
	s_waitcnt vmcnt(1)
	v_mov_b32_e32 v4, v9
	v_add_u32_e32 v5, v11, v5
	s_waitcnt vmcnt(0)
	v_add_co_u32_e32 v6, vcc, v6, v12
	v_addc_co_u32_e32 v7, vcc, v7, v5, vcc
	global_store_dwordx2 v[6:7], v[9:10], off
	v_mov_b32_e32 v5, v10
	s_waitcnt vmcnt(0)
	global_atomic_cmpswap_x2 v[4:5], v8, v[2:5], s[44:45] offset:24 glc
	s_waitcnt vmcnt(0)
	v_cmp_ne_u64_e32 vcc, v[4:5], v[9:10]
	s_and_b64 exec, exec, vcc
	s_cbranch_execz .LBB3_1585
.LBB3_1584:                             ; =>This Inner Loop Header: Depth=1
	s_sleep 1
	global_store_dwordx2 v[6:7], v[4:5], off
	s_waitcnt vmcnt(0)
	global_atomic_cmpswap_x2 v[9:10], v8, v[2:5], s[44:45] offset:24 glc
	s_waitcnt vmcnt(0)
	v_cmp_eq_u64_e32 vcc, v[9:10], v[4:5]
	v_mov_b32_e32 v4, v9
	s_or_b64 s[4:5], vcc, s[4:5]
	v_mov_b32_e32 v5, v10
	s_andn2_b64 exec, exec, s[4:5]
	s_cbranch_execnz .LBB3_1584
.LBB3_1585:
	s_or_b64 exec, exec, s[10:11]
	s_and_b64 vcc, exec, s[46:47]
	s_cbranch_vccz .LBB3_1670
; %bb.1586:
	s_waitcnt vmcnt(0)
	v_and_b32_e32 v31, 2, v0
	v_mov_b32_e32 v28, 0
	v_and_b32_e32 v2, -3, v0
	v_mov_b32_e32 v3, v1
	s_mov_b64 s[10:11], 3
	v_mov_b32_e32 v6, 2
	v_mov_b32_e32 v7, 1
	s_getpc_b64 s[6:7]
	s_add_u32 s6, s6, .str.6@rel32@lo+4
	s_addc_u32 s7, s7, .str.6@rel32@hi+12
	s_branch .LBB3_1588
.LBB3_1587:                             ;   in Loop: Header=BB3_1588 Depth=1
	s_or_b64 exec, exec, s[20:21]
	s_sub_u32 s10, s10, s16
	s_subb_u32 s11, s11, s17
	s_add_u32 s6, s6, s16
	s_addc_u32 s7, s7, s17
	s_cmp_lg_u64 s[10:11], 0
	s_cbranch_scc0 .LBB3_1669
.LBB3_1588:                             ; =>This Loop Header: Depth=1
                                        ;     Child Loop BB3_1591 Depth 2
                                        ;     Child Loop BB3_1598 Depth 2
	;; [unrolled: 1-line block ×11, first 2 shown]
	v_cmp_lt_u64_e64 s[4:5], s[10:11], 56
	v_cmp_gt_u64_e64 s[18:19], s[10:11], 7
	s_and_b64 s[4:5], s[4:5], exec
	s_cselect_b32 s17, s11, 0
	s_cselect_b32 s16, s10, 56
	s_and_b64 vcc, exec, s[18:19]
	s_cbranch_vccnz .LBB3_1593
; %bb.1589:                             ;   in Loop: Header=BB3_1588 Depth=1
	v_mov_b32_e32 v10, 0
	s_cmp_eq_u64 s[10:11], 0
	v_mov_b32_e32 v11, 0
	s_mov_b64 s[4:5], 0
	s_cbranch_scc1 .LBB3_1592
; %bb.1590:                             ;   in Loop: Header=BB3_1588 Depth=1
	v_mov_b32_e32 v10, 0
	s_lshl_b64 s[18:19], s[16:17], 3
	s_mov_b64 s[20:21], 0
	v_mov_b32_e32 v11, 0
	s_mov_b64 s[22:23], s[6:7]
.LBB3_1591:                             ;   Parent Loop BB3_1588 Depth=1
                                        ; =>  This Inner Loop Header: Depth=2
	global_load_ubyte v4, v28, s[22:23]
	s_waitcnt vmcnt(0)
	v_and_b32_e32 v27, 0xffff, v4
	v_lshlrev_b64 v[4:5], s20, v[27:28]
	s_add_u32 s20, s20, 8
	s_addc_u32 s21, s21, 0
	s_add_u32 s22, s22, 1
	s_addc_u32 s23, s23, 0
	v_or_b32_e32 v10, v4, v10
	s_cmp_lg_u32 s18, s20
	v_or_b32_e32 v11, v5, v11
	s_cbranch_scc1 .LBB3_1591
.LBB3_1592:                             ;   in Loop: Header=BB3_1588 Depth=1
	s_mov_b32 s15, 0
	s_andn2_b64 vcc, exec, s[4:5]
	s_mov_b64 s[4:5], s[6:7]
	s_cbranch_vccz .LBB3_1594
	s_branch .LBB3_1595
.LBB3_1593:                             ;   in Loop: Header=BB3_1588 Depth=1
                                        ; implicit-def: $vgpr10_vgpr11
                                        ; implicit-def: $sgpr15
	s_mov_b64 s[4:5], s[6:7]
.LBB3_1594:                             ;   in Loop: Header=BB3_1588 Depth=1
	global_load_dwordx2 v[10:11], v28, s[6:7]
	s_add_i32 s15, s16, -8
	s_add_u32 s4, s6, 8
	s_addc_u32 s5, s7, 0
.LBB3_1595:                             ;   in Loop: Header=BB3_1588 Depth=1
	s_cmp_gt_u32 s15, 7
	s_cbranch_scc1 .LBB3_1599
; %bb.1596:                             ;   in Loop: Header=BB3_1588 Depth=1
	s_cmp_eq_u32 s15, 0
	s_cbranch_scc1 .LBB3_1600
; %bb.1597:                             ;   in Loop: Header=BB3_1588 Depth=1
	v_mov_b32_e32 v12, 0
	s_mov_b64 s[18:19], 0
	v_mov_b32_e32 v13, 0
	s_mov_b64 s[20:21], 0
.LBB3_1598:                             ;   Parent Loop BB3_1588 Depth=1
                                        ; =>  This Inner Loop Header: Depth=2
	s_add_u32 s22, s4, s20
	s_addc_u32 s23, s5, s21
	global_load_ubyte v4, v28, s[22:23]
	s_add_u32 s20, s20, 1
	s_addc_u32 s21, s21, 0
	s_waitcnt vmcnt(0)
	v_and_b32_e32 v27, 0xffff, v4
	v_lshlrev_b64 v[4:5], s18, v[27:28]
	s_add_u32 s18, s18, 8
	s_addc_u32 s19, s19, 0
	v_or_b32_e32 v12, v4, v12
	s_cmp_lg_u32 s15, s20
	v_or_b32_e32 v13, v5, v13
	s_cbranch_scc1 .LBB3_1598
	s_branch .LBB3_1601
.LBB3_1599:                             ;   in Loop: Header=BB3_1588 Depth=1
                                        ; implicit-def: $vgpr12_vgpr13
                                        ; implicit-def: $sgpr22
	s_branch .LBB3_1602
.LBB3_1600:                             ;   in Loop: Header=BB3_1588 Depth=1
	v_mov_b32_e32 v12, 0
	v_mov_b32_e32 v13, 0
.LBB3_1601:                             ;   in Loop: Header=BB3_1588 Depth=1
	s_mov_b32 s22, 0
	s_cbranch_execnz .LBB3_1603
.LBB3_1602:                             ;   in Loop: Header=BB3_1588 Depth=1
	global_load_dwordx2 v[12:13], v28, s[4:5]
	s_add_i32 s22, s15, -8
	s_add_u32 s4, s4, 8
	s_addc_u32 s5, s5, 0
.LBB3_1603:                             ;   in Loop: Header=BB3_1588 Depth=1
	s_cmp_gt_u32 s22, 7
	s_cbranch_scc1 .LBB3_1607
; %bb.1604:                             ;   in Loop: Header=BB3_1588 Depth=1
	s_cmp_eq_u32 s22, 0
	s_cbranch_scc1 .LBB3_1608
; %bb.1605:                             ;   in Loop: Header=BB3_1588 Depth=1
	v_mov_b32_e32 v14, 0
	s_mov_b64 s[18:19], 0
	v_mov_b32_e32 v15, 0
	s_mov_b64 s[20:21], 0
.LBB3_1606:                             ;   Parent Loop BB3_1588 Depth=1
                                        ; =>  This Inner Loop Header: Depth=2
	s_add_u32 s24, s4, s20
	s_addc_u32 s25, s5, s21
	global_load_ubyte v4, v28, s[24:25]
	s_add_u32 s20, s20, 1
	s_addc_u32 s21, s21, 0
	s_waitcnt vmcnt(0)
	v_and_b32_e32 v27, 0xffff, v4
	v_lshlrev_b64 v[4:5], s18, v[27:28]
	s_add_u32 s18, s18, 8
	s_addc_u32 s19, s19, 0
	v_or_b32_e32 v14, v4, v14
	s_cmp_lg_u32 s22, s20
	v_or_b32_e32 v15, v5, v15
	s_cbranch_scc1 .LBB3_1606
	s_branch .LBB3_1609
.LBB3_1607:                             ;   in Loop: Header=BB3_1588 Depth=1
                                        ; implicit-def: $sgpr15
	s_branch .LBB3_1610
.LBB3_1608:                             ;   in Loop: Header=BB3_1588 Depth=1
	v_mov_b32_e32 v14, 0
	v_mov_b32_e32 v15, 0
.LBB3_1609:                             ;   in Loop: Header=BB3_1588 Depth=1
	s_mov_b32 s15, 0
	s_cbranch_execnz .LBB3_1611
.LBB3_1610:                             ;   in Loop: Header=BB3_1588 Depth=1
	global_load_dwordx2 v[14:15], v28, s[4:5]
	s_add_i32 s15, s22, -8
	s_add_u32 s4, s4, 8
	s_addc_u32 s5, s5, 0
.LBB3_1611:                             ;   in Loop: Header=BB3_1588 Depth=1
	s_cmp_gt_u32 s15, 7
	s_cbranch_scc1 .LBB3_1615
; %bb.1612:                             ;   in Loop: Header=BB3_1588 Depth=1
	s_cmp_eq_u32 s15, 0
	s_cbranch_scc1 .LBB3_1616
; %bb.1613:                             ;   in Loop: Header=BB3_1588 Depth=1
	v_mov_b32_e32 v16, 0
	s_mov_b64 s[18:19], 0
	v_mov_b32_e32 v17, 0
	s_mov_b64 s[20:21], 0
.LBB3_1614:                             ;   Parent Loop BB3_1588 Depth=1
                                        ; =>  This Inner Loop Header: Depth=2
	s_add_u32 s22, s4, s20
	s_addc_u32 s23, s5, s21
	global_load_ubyte v4, v28, s[22:23]
	s_add_u32 s20, s20, 1
	s_addc_u32 s21, s21, 0
	s_waitcnt vmcnt(0)
	v_and_b32_e32 v27, 0xffff, v4
	v_lshlrev_b64 v[4:5], s18, v[27:28]
	s_add_u32 s18, s18, 8
	s_addc_u32 s19, s19, 0
	v_or_b32_e32 v16, v4, v16
	s_cmp_lg_u32 s15, s20
	v_or_b32_e32 v17, v5, v17
	s_cbranch_scc1 .LBB3_1614
	s_branch .LBB3_1617
.LBB3_1615:                             ;   in Loop: Header=BB3_1588 Depth=1
                                        ; implicit-def: $vgpr16_vgpr17
                                        ; implicit-def: $sgpr22
	s_branch .LBB3_1618
.LBB3_1616:                             ;   in Loop: Header=BB3_1588 Depth=1
	v_mov_b32_e32 v16, 0
	v_mov_b32_e32 v17, 0
.LBB3_1617:                             ;   in Loop: Header=BB3_1588 Depth=1
	s_mov_b32 s22, 0
	s_cbranch_execnz .LBB3_1619
.LBB3_1618:                             ;   in Loop: Header=BB3_1588 Depth=1
	global_load_dwordx2 v[16:17], v28, s[4:5]
	s_add_i32 s22, s15, -8
	s_add_u32 s4, s4, 8
	s_addc_u32 s5, s5, 0
.LBB3_1619:                             ;   in Loop: Header=BB3_1588 Depth=1
	s_cmp_gt_u32 s22, 7
	s_cbranch_scc1 .LBB3_1623
; %bb.1620:                             ;   in Loop: Header=BB3_1588 Depth=1
	s_cmp_eq_u32 s22, 0
	s_cbranch_scc1 .LBB3_1624
; %bb.1621:                             ;   in Loop: Header=BB3_1588 Depth=1
	v_mov_b32_e32 v18, 0
	s_mov_b64 s[18:19], 0
	v_mov_b32_e32 v19, 0
	s_mov_b64 s[20:21], 0
.LBB3_1622:                             ;   Parent Loop BB3_1588 Depth=1
                                        ; =>  This Inner Loop Header: Depth=2
	s_add_u32 s24, s4, s20
	s_addc_u32 s25, s5, s21
	global_load_ubyte v4, v28, s[24:25]
	s_add_u32 s20, s20, 1
	s_addc_u32 s21, s21, 0
	s_waitcnt vmcnt(0)
	v_and_b32_e32 v27, 0xffff, v4
	v_lshlrev_b64 v[4:5], s18, v[27:28]
	s_add_u32 s18, s18, 8
	s_addc_u32 s19, s19, 0
	v_or_b32_e32 v18, v4, v18
	s_cmp_lg_u32 s22, s20
	v_or_b32_e32 v19, v5, v19
	s_cbranch_scc1 .LBB3_1622
	s_branch .LBB3_1625
.LBB3_1623:                             ;   in Loop: Header=BB3_1588 Depth=1
                                        ; implicit-def: $sgpr15
	s_branch .LBB3_1626
.LBB3_1624:                             ;   in Loop: Header=BB3_1588 Depth=1
	v_mov_b32_e32 v18, 0
	v_mov_b32_e32 v19, 0
.LBB3_1625:                             ;   in Loop: Header=BB3_1588 Depth=1
	s_mov_b32 s15, 0
	s_cbranch_execnz .LBB3_1627
.LBB3_1626:                             ;   in Loop: Header=BB3_1588 Depth=1
	global_load_dwordx2 v[18:19], v28, s[4:5]
	s_add_i32 s15, s22, -8
	s_add_u32 s4, s4, 8
	s_addc_u32 s5, s5, 0
.LBB3_1627:                             ;   in Loop: Header=BB3_1588 Depth=1
	s_cmp_gt_u32 s15, 7
	s_cbranch_scc1 .LBB3_1631
; %bb.1628:                             ;   in Loop: Header=BB3_1588 Depth=1
	s_cmp_eq_u32 s15, 0
	s_cbranch_scc1 .LBB3_1632
; %bb.1629:                             ;   in Loop: Header=BB3_1588 Depth=1
	v_mov_b32_e32 v20, 0
	s_mov_b64 s[18:19], 0
	v_mov_b32_e32 v21, 0
	s_mov_b64 s[20:21], 0
.LBB3_1630:                             ;   Parent Loop BB3_1588 Depth=1
                                        ; =>  This Inner Loop Header: Depth=2
	s_add_u32 s22, s4, s20
	s_addc_u32 s23, s5, s21
	global_load_ubyte v4, v28, s[22:23]
	s_add_u32 s20, s20, 1
	s_addc_u32 s21, s21, 0
	s_waitcnt vmcnt(0)
	v_and_b32_e32 v27, 0xffff, v4
	v_lshlrev_b64 v[4:5], s18, v[27:28]
	s_add_u32 s18, s18, 8
	s_addc_u32 s19, s19, 0
	v_or_b32_e32 v20, v4, v20
	s_cmp_lg_u32 s15, s20
	v_or_b32_e32 v21, v5, v21
	s_cbranch_scc1 .LBB3_1630
	s_branch .LBB3_1633
.LBB3_1631:                             ;   in Loop: Header=BB3_1588 Depth=1
                                        ; implicit-def: $vgpr20_vgpr21
                                        ; implicit-def: $sgpr22
	s_branch .LBB3_1634
.LBB3_1632:                             ;   in Loop: Header=BB3_1588 Depth=1
	v_mov_b32_e32 v20, 0
	v_mov_b32_e32 v21, 0
.LBB3_1633:                             ;   in Loop: Header=BB3_1588 Depth=1
	s_mov_b32 s22, 0
	s_cbranch_execnz .LBB3_1635
.LBB3_1634:                             ;   in Loop: Header=BB3_1588 Depth=1
	global_load_dwordx2 v[20:21], v28, s[4:5]
	s_add_i32 s22, s15, -8
	s_add_u32 s4, s4, 8
	s_addc_u32 s5, s5, 0
.LBB3_1635:                             ;   in Loop: Header=BB3_1588 Depth=1
	s_cmp_gt_u32 s22, 7
	s_cbranch_scc1 .LBB3_1639
; %bb.1636:                             ;   in Loop: Header=BB3_1588 Depth=1
	s_cmp_eq_u32 s22, 0
	s_cbranch_scc1 .LBB3_1640
; %bb.1637:                             ;   in Loop: Header=BB3_1588 Depth=1
	v_mov_b32_e32 v22, 0
	s_mov_b64 s[18:19], 0
	v_mov_b32_e32 v23, 0
	s_mov_b64 s[20:21], s[4:5]
.LBB3_1638:                             ;   Parent Loop BB3_1588 Depth=1
                                        ; =>  This Inner Loop Header: Depth=2
	global_load_ubyte v4, v28, s[20:21]
	s_add_i32 s22, s22, -1
	s_waitcnt vmcnt(0)
	v_and_b32_e32 v27, 0xffff, v4
	v_lshlrev_b64 v[4:5], s18, v[27:28]
	s_add_u32 s18, s18, 8
	s_addc_u32 s19, s19, 0
	s_add_u32 s20, s20, 1
	s_addc_u32 s21, s21, 0
	v_or_b32_e32 v22, v4, v22
	s_cmp_lg_u32 s22, 0
	v_or_b32_e32 v23, v5, v23
	s_cbranch_scc1 .LBB3_1638
	s_branch .LBB3_1641
.LBB3_1639:                             ;   in Loop: Header=BB3_1588 Depth=1
	s_branch .LBB3_1642
.LBB3_1640:                             ;   in Loop: Header=BB3_1588 Depth=1
	v_mov_b32_e32 v22, 0
	v_mov_b32_e32 v23, 0
.LBB3_1641:                             ;   in Loop: Header=BB3_1588 Depth=1
	s_cbranch_execnz .LBB3_1643
.LBB3_1642:                             ;   in Loop: Header=BB3_1588 Depth=1
	global_load_dwordx2 v[22:23], v28, s[4:5]
.LBB3_1643:                             ;   in Loop: Header=BB3_1588 Depth=1
	v_readfirstlane_b32 s4, v51
	s_waitcnt vmcnt(0)
	v_mov_b32_e32 v4, 0
	v_mov_b32_e32 v5, 0
	v_cmp_eq_u32_e64 s[4:5], s4, v51
	s_and_saveexec_b64 s[18:19], s[4:5]
	s_cbranch_execz .LBB3_1649
; %bb.1644:                             ;   in Loop: Header=BB3_1588 Depth=1
	global_load_dwordx2 v[26:27], v28, s[44:45] offset:24 glc
	s_waitcnt vmcnt(0)
	buffer_wbinvl1_vol
	global_load_dwordx2 v[4:5], v28, s[44:45] offset:40
	global_load_dwordx2 v[8:9], v28, s[44:45]
	s_waitcnt vmcnt(1)
	v_and_b32_e32 v4, v4, v26
	v_and_b32_e32 v5, v5, v27
	v_mul_lo_u32 v5, v5, 24
	v_mul_hi_u32 v24, v4, 24
	v_mul_lo_u32 v4, v4, 24
	v_add_u32_e32 v5, v24, v5
	s_waitcnt vmcnt(0)
	v_add_co_u32_e32 v4, vcc, v8, v4
	v_addc_co_u32_e32 v5, vcc, v9, v5, vcc
	global_load_dwordx2 v[24:25], v[4:5], off glc
	s_waitcnt vmcnt(0)
	global_atomic_cmpswap_x2 v[4:5], v28, v[24:27], s[44:45] offset:24 glc
	s_waitcnt vmcnt(0)
	buffer_wbinvl1_vol
	v_cmp_ne_u64_e32 vcc, v[4:5], v[26:27]
	s_and_saveexec_b64 s[20:21], vcc
	s_cbranch_execz .LBB3_1648
; %bb.1645:                             ;   in Loop: Header=BB3_1588 Depth=1
	s_mov_b64 s[22:23], 0
.LBB3_1646:                             ;   Parent Loop BB3_1588 Depth=1
                                        ; =>  This Inner Loop Header: Depth=2
	s_sleep 1
	global_load_dwordx2 v[8:9], v28, s[44:45] offset:40
	global_load_dwordx2 v[24:25], v28, s[44:45]
	v_mov_b32_e32 v27, v5
	v_mov_b32_e32 v26, v4
	s_waitcnt vmcnt(1)
	v_and_b32_e32 v4, v8, v26
	s_waitcnt vmcnt(0)
	v_mad_u64_u32 v[4:5], s[24:25], v4, 24, v[24:25]
	v_and_b32_e32 v8, v9, v27
	v_mad_u64_u32 v[8:9], s[24:25], v8, 24, v[5:6]
	v_mov_b32_e32 v5, v8
	global_load_dwordx2 v[24:25], v[4:5], off glc
	s_waitcnt vmcnt(0)
	global_atomic_cmpswap_x2 v[4:5], v28, v[24:27], s[44:45] offset:24 glc
	s_waitcnt vmcnt(0)
	buffer_wbinvl1_vol
	v_cmp_eq_u64_e32 vcc, v[4:5], v[26:27]
	s_or_b64 s[22:23], vcc, s[22:23]
	s_andn2_b64 exec, exec, s[22:23]
	s_cbranch_execnz .LBB3_1646
; %bb.1647:                             ;   in Loop: Header=BB3_1588 Depth=1
	s_or_b64 exec, exec, s[22:23]
.LBB3_1648:                             ;   in Loop: Header=BB3_1588 Depth=1
	s_or_b64 exec, exec, s[20:21]
.LBB3_1649:                             ;   in Loop: Header=BB3_1588 Depth=1
	s_or_b64 exec, exec, s[18:19]
	global_load_dwordx2 v[8:9], v28, s[44:45] offset:40
	global_load_dwordx4 v[24:27], v28, s[44:45]
	v_readfirstlane_b32 s18, v4
	v_readfirstlane_b32 s19, v5
	s_mov_b64 s[20:21], exec
	s_waitcnt vmcnt(1)
	v_readfirstlane_b32 s22, v8
	v_readfirstlane_b32 s23, v9
	s_and_b64 s[22:23], s[18:19], s[22:23]
	s_mul_i32 s15, s23, 24
	s_mul_hi_u32 s24, s22, 24
	s_mul_i32 s25, s22, 24
	s_add_i32 s15, s24, s15
	v_mov_b32_e32 v4, s15
	s_waitcnt vmcnt(0)
	v_add_co_u32_e32 v29, vcc, s25, v24
	v_addc_co_u32_e32 v30, vcc, v25, v4, vcc
	s_and_saveexec_b64 s[24:25], s[4:5]
	s_cbranch_execz .LBB3_1651
; %bb.1650:                             ;   in Loop: Header=BB3_1588 Depth=1
	v_mov_b32_e32 v4, s20
	v_mov_b32_e32 v5, s21
	global_store_dwordx4 v[29:30], v[4:7], off offset:8
.LBB3_1651:                             ;   in Loop: Header=BB3_1588 Depth=1
	s_or_b64 exec, exec, s[24:25]
	s_lshl_b64 s[20:21], s[22:23], 12
	v_mov_b32_e32 v4, s21
	v_add_co_u32_e32 v26, vcc, s20, v26
	v_addc_co_u32_e32 v32, vcc, v27, v4, vcc
	v_cmp_gt_u64_e64 vcc, s[10:11], 56
	v_or_b32_e32 v5, v2, v31
	s_lshl_b32 s15, s16, 2
	v_cndmask_b32_e32 v2, v5, v2, vcc
	s_add_i32 s15, s15, 28
	v_or_b32_e32 v4, 0, v3
	s_and_b32 s15, s15, 0x1e0
	v_and_b32_e32 v2, 0xffffff1f, v2
	v_cndmask_b32_e32 v9, v4, v3, vcc
	v_or_b32_e32 v8, s15, v2
	v_readfirstlane_b32 s20, v26
	v_readfirstlane_b32 s21, v32
	s_nop 4
	global_store_dwordx4 v50, v[8:11], s[20:21]
	global_store_dwordx4 v50, v[12:15], s[20:21] offset:16
	global_store_dwordx4 v50, v[16:19], s[20:21] offset:32
	;; [unrolled: 1-line block ×3, first 2 shown]
	s_and_saveexec_b64 s[20:21], s[4:5]
	s_cbranch_execz .LBB3_1659
; %bb.1652:                             ;   in Loop: Header=BB3_1588 Depth=1
	global_load_dwordx2 v[12:13], v28, s[44:45] offset:32 glc
	global_load_dwordx2 v[2:3], v28, s[44:45] offset:40
	v_mov_b32_e32 v10, s18
	v_mov_b32_e32 v11, s19
	s_waitcnt vmcnt(0)
	v_readfirstlane_b32 s22, v2
	v_readfirstlane_b32 s23, v3
	s_and_b64 s[22:23], s[22:23], s[18:19]
	s_mul_i32 s15, s23, 24
	s_mul_hi_u32 s23, s22, 24
	s_mul_i32 s22, s22, 24
	s_add_i32 s15, s23, s15
	v_mov_b32_e32 v2, s15
	v_add_co_u32_e32 v8, vcc, s22, v24
	v_addc_co_u32_e32 v9, vcc, v25, v2, vcc
	global_store_dwordx2 v[8:9], v[12:13], off
	s_waitcnt vmcnt(0)
	global_atomic_cmpswap_x2 v[4:5], v28, v[10:13], s[44:45] offset:32 glc
	s_waitcnt vmcnt(0)
	v_cmp_ne_u64_e32 vcc, v[4:5], v[12:13]
	s_and_saveexec_b64 s[22:23], vcc
	s_cbranch_execz .LBB3_1655
; %bb.1653:                             ;   in Loop: Header=BB3_1588 Depth=1
	s_mov_b64 s[24:25], 0
.LBB3_1654:                             ;   Parent Loop BB3_1588 Depth=1
                                        ; =>  This Inner Loop Header: Depth=2
	s_sleep 1
	global_store_dwordx2 v[8:9], v[4:5], off
	v_mov_b32_e32 v2, s18
	v_mov_b32_e32 v3, s19
	s_waitcnt vmcnt(0)
	global_atomic_cmpswap_x2 v[2:3], v28, v[2:5], s[44:45] offset:32 glc
	s_waitcnt vmcnt(0)
	v_cmp_eq_u64_e32 vcc, v[2:3], v[4:5]
	v_mov_b32_e32 v5, v3
	s_or_b64 s[24:25], vcc, s[24:25]
	v_mov_b32_e32 v4, v2
	s_andn2_b64 exec, exec, s[24:25]
	s_cbranch_execnz .LBB3_1654
.LBB3_1655:                             ;   in Loop: Header=BB3_1588 Depth=1
	s_or_b64 exec, exec, s[22:23]
	global_load_dwordx2 v[2:3], v28, s[44:45] offset:16
	s_mov_b64 s[24:25], exec
	v_mbcnt_lo_u32_b32 v4, s24, 0
	v_mbcnt_hi_u32_b32 v4, s25, v4
	v_cmp_eq_u32_e32 vcc, 0, v4
	s_and_saveexec_b64 s[22:23], vcc
	s_cbranch_execz .LBB3_1657
; %bb.1656:                             ;   in Loop: Header=BB3_1588 Depth=1
	s_bcnt1_i32_b64 s15, s[24:25]
	v_mov_b32_e32 v27, s15
	s_waitcnt vmcnt(0)
	global_atomic_add_x2 v[2:3], v[27:28], off offset:8
.LBB3_1657:                             ;   in Loop: Header=BB3_1588 Depth=1
	s_or_b64 exec, exec, s[22:23]
	s_waitcnt vmcnt(0)
	global_load_dwordx2 v[4:5], v[2:3], off offset:16
	s_waitcnt vmcnt(0)
	v_cmp_eq_u64_e32 vcc, 0, v[4:5]
	s_cbranch_vccnz .LBB3_1659
; %bb.1658:                             ;   in Loop: Header=BB3_1588 Depth=1
	global_load_dword v27, v[2:3], off offset:24
	s_waitcnt vmcnt(0)
	v_and_b32_e32 v2, 0xffffff, v27
	v_readfirstlane_b32 m0, v2
	global_store_dwordx2 v[4:5], v[27:28], off
	s_sendmsg sendmsg(MSG_INTERRUPT)
.LBB3_1659:                             ;   in Loop: Header=BB3_1588 Depth=1
	s_or_b64 exec, exec, s[20:21]
	v_add_co_u32_e32 v2, vcc, v26, v50
	v_addc_co_u32_e32 v3, vcc, 0, v32, vcc
	s_branch .LBB3_1663
.LBB3_1660:                             ;   in Loop: Header=BB3_1663 Depth=2
	s_or_b64 exec, exec, s[20:21]
	v_readfirstlane_b32 s15, v4
	s_cmp_eq_u32 s15, 0
	s_cbranch_scc1 .LBB3_1662
; %bb.1661:                             ;   in Loop: Header=BB3_1663 Depth=2
	s_sleep 1
	s_cbranch_execnz .LBB3_1663
	s_branch .LBB3_1665
.LBB3_1662:                             ;   in Loop: Header=BB3_1588 Depth=1
	s_branch .LBB3_1665
.LBB3_1663:                             ;   Parent Loop BB3_1588 Depth=1
                                        ; =>  This Inner Loop Header: Depth=2
	v_mov_b32_e32 v4, 1
	s_and_saveexec_b64 s[20:21], s[4:5]
	s_cbranch_execz .LBB3_1660
; %bb.1664:                             ;   in Loop: Header=BB3_1663 Depth=2
	global_load_dword v4, v[29:30], off offset:20 glc
	s_waitcnt vmcnt(0)
	buffer_wbinvl1_vol
	v_and_b32_e32 v4, 1, v4
	s_branch .LBB3_1660
.LBB3_1665:                             ;   in Loop: Header=BB3_1588 Depth=1
	global_load_dwordx4 v[2:5], v[2:3], off
	s_and_saveexec_b64 s[20:21], s[4:5]
	s_cbranch_execz .LBB3_1587
; %bb.1666:                             ;   in Loop: Header=BB3_1588 Depth=1
	global_load_dwordx2 v[4:5], v28, s[44:45] offset:40
	global_load_dwordx2 v[12:13], v28, s[44:45] offset:24 glc
	global_load_dwordx2 v[14:15], v28, s[44:45]
	v_mov_b32_e32 v9, s19
	s_waitcnt vmcnt(2)
	v_add_co_u32_e32 v10, vcc, 1, v4
	v_addc_co_u32_e32 v11, vcc, 0, v5, vcc
	v_add_co_u32_e32 v8, vcc, s18, v10
	v_addc_co_u32_e32 v9, vcc, v11, v9, vcc
	v_cmp_eq_u64_e32 vcc, 0, v[8:9]
	v_cndmask_b32_e32 v9, v9, v11, vcc
	v_cndmask_b32_e32 v8, v8, v10, vcc
	v_and_b32_e32 v5, v9, v5
	v_and_b32_e32 v4, v8, v4
	v_mul_lo_u32 v5, v5, 24
	v_mul_hi_u32 v11, v4, 24
	v_mul_lo_u32 v4, v4, 24
	s_waitcnt vmcnt(1)
	v_mov_b32_e32 v10, v12
	v_add_u32_e32 v5, v11, v5
	s_waitcnt vmcnt(0)
	v_add_co_u32_e32 v4, vcc, v14, v4
	v_addc_co_u32_e32 v5, vcc, v15, v5, vcc
	global_store_dwordx2 v[4:5], v[12:13], off
	v_mov_b32_e32 v11, v13
	s_waitcnt vmcnt(0)
	global_atomic_cmpswap_x2 v[10:11], v28, v[8:11], s[44:45] offset:24 glc
	s_waitcnt vmcnt(0)
	v_cmp_ne_u64_e32 vcc, v[10:11], v[12:13]
	s_and_b64 exec, exec, vcc
	s_cbranch_execz .LBB3_1587
; %bb.1667:                             ;   in Loop: Header=BB3_1588 Depth=1
	s_mov_b64 s[4:5], 0
.LBB3_1668:                             ;   Parent Loop BB3_1588 Depth=1
                                        ; =>  This Inner Loop Header: Depth=2
	s_sleep 1
	global_store_dwordx2 v[4:5], v[10:11], off
	s_waitcnt vmcnt(0)
	global_atomic_cmpswap_x2 v[12:13], v28, v[8:11], s[44:45] offset:24 glc
	s_waitcnt vmcnt(0)
	v_cmp_eq_u64_e32 vcc, v[12:13], v[10:11]
	v_mov_b32_e32 v10, v12
	s_or_b64 s[4:5], vcc, s[4:5]
	v_mov_b32_e32 v11, v13
	s_andn2_b64 exec, exec, s[4:5]
	s_cbranch_execnz .LBB3_1668
	s_branch .LBB3_1587
.LBB3_1669:
	s_branch .LBB3_1697
.LBB3_1670:
                                        ; implicit-def: $vgpr2_vgpr3
	s_cbranch_execz .LBB3_1697
; %bb.1671:
	v_readfirstlane_b32 s4, v51
	v_mov_b32_e32 v8, 0
	v_mov_b32_e32 v9, 0
	v_cmp_eq_u32_e64 s[4:5], s4, v51
	s_and_saveexec_b64 s[6:7], s[4:5]
	s_cbranch_execz .LBB3_1677
; %bb.1672:
	s_waitcnt vmcnt(0)
	v_mov_b32_e32 v2, 0
	global_load_dwordx2 v[5:6], v2, s[44:45] offset:24 glc
	s_waitcnt vmcnt(0)
	buffer_wbinvl1_vol
	global_load_dwordx2 v[3:4], v2, s[44:45] offset:40
	global_load_dwordx2 v[7:8], v2, s[44:45]
	s_waitcnt vmcnt(1)
	v_and_b32_e32 v3, v3, v5
	v_and_b32_e32 v4, v4, v6
	v_mul_lo_u32 v4, v4, 24
	v_mul_hi_u32 v9, v3, 24
	v_mul_lo_u32 v3, v3, 24
	v_add_u32_e32 v4, v9, v4
	s_waitcnt vmcnt(0)
	v_add_co_u32_e32 v3, vcc, v7, v3
	v_addc_co_u32_e32 v4, vcc, v8, v4, vcc
	global_load_dwordx2 v[3:4], v[3:4], off glc
	s_waitcnt vmcnt(0)
	global_atomic_cmpswap_x2 v[8:9], v2, v[3:6], s[44:45] offset:24 glc
	s_waitcnt vmcnt(0)
	buffer_wbinvl1_vol
	v_cmp_ne_u64_e32 vcc, v[8:9], v[5:6]
	s_and_saveexec_b64 s[10:11], vcc
	s_cbranch_execz .LBB3_1676
; %bb.1673:
	s_mov_b64 s[16:17], 0
.LBB3_1674:                             ; =>This Inner Loop Header: Depth=1
	s_sleep 1
	global_load_dwordx2 v[3:4], v2, s[44:45] offset:40
	global_load_dwordx2 v[10:11], v2, s[44:45]
	v_mov_b32_e32 v5, v8
	v_mov_b32_e32 v6, v9
	s_waitcnt vmcnt(1)
	v_and_b32_e32 v3, v3, v5
	s_waitcnt vmcnt(0)
	v_mad_u64_u32 v[7:8], s[18:19], v3, 24, v[10:11]
	v_and_b32_e32 v4, v4, v6
	v_mov_b32_e32 v3, v8
	v_mad_u64_u32 v[3:4], s[18:19], v4, 24, v[3:4]
	v_mov_b32_e32 v8, v3
	global_load_dwordx2 v[3:4], v[7:8], off glc
	s_waitcnt vmcnt(0)
	global_atomic_cmpswap_x2 v[8:9], v2, v[3:6], s[44:45] offset:24 glc
	s_waitcnt vmcnt(0)
	buffer_wbinvl1_vol
	v_cmp_eq_u64_e32 vcc, v[8:9], v[5:6]
	s_or_b64 s[16:17], vcc, s[16:17]
	s_andn2_b64 exec, exec, s[16:17]
	s_cbranch_execnz .LBB3_1674
; %bb.1675:
	s_or_b64 exec, exec, s[16:17]
.LBB3_1676:
	s_or_b64 exec, exec, s[10:11]
.LBB3_1677:
	s_or_b64 exec, exec, s[6:7]
	s_waitcnt vmcnt(0)
	v_mov_b32_e32 v2, 0
	global_load_dwordx2 v[10:11], v2, s[44:45] offset:40
	global_load_dwordx4 v[4:7], v2, s[44:45]
	v_readfirstlane_b32 s6, v8
	v_readfirstlane_b32 s7, v9
	s_mov_b64 s[10:11], exec
	s_waitcnt vmcnt(1)
	v_readfirstlane_b32 s16, v10
	v_readfirstlane_b32 s17, v11
	s_and_b64 s[16:17], s[6:7], s[16:17]
	s_mul_i32 s15, s17, 24
	s_mul_hi_u32 s18, s16, 24
	s_mul_i32 s19, s16, 24
	s_add_i32 s15, s18, s15
	v_mov_b32_e32 v3, s15
	s_waitcnt vmcnt(0)
	v_add_co_u32_e32 v8, vcc, s19, v4
	v_addc_co_u32_e32 v9, vcc, v5, v3, vcc
	s_and_saveexec_b64 s[18:19], s[4:5]
	s_cbranch_execz .LBB3_1679
; %bb.1678:
	v_mov_b32_e32 v10, s10
	v_mov_b32_e32 v11, s11
	;; [unrolled: 1-line block ×4, first 2 shown]
	global_store_dwordx4 v[8:9], v[10:13], off offset:8
.LBB3_1679:
	s_or_b64 exec, exec, s[18:19]
	s_lshl_b64 s[10:11], s[16:17], 12
	v_mov_b32_e32 v3, s11
	v_add_co_u32_e32 v10, vcc, s10, v6
	v_addc_co_u32_e32 v11, vcc, v7, v3, vcc
	s_movk_i32 s10, 0xff1f
	v_and_or_b32 v0, v0, s10, 32
	s_mov_b32 s16, 0
	v_mov_b32_e32 v3, v2
	v_readfirstlane_b32 s10, v10
	v_readfirstlane_b32 s11, v11
	v_add_co_u32_e32 v6, vcc, v10, v50
	s_mov_b32 s17, s16
	s_mov_b32 s18, s16
	;; [unrolled: 1-line block ×3, first 2 shown]
	s_nop 0
	global_store_dwordx4 v50, v[0:3], s[10:11]
	v_addc_co_u32_e32 v7, vcc, 0, v11, vcc
	v_mov_b32_e32 v0, s16
	v_mov_b32_e32 v1, s17
	;; [unrolled: 1-line block ×4, first 2 shown]
	global_store_dwordx4 v50, v[0:3], s[10:11] offset:16
	global_store_dwordx4 v50, v[0:3], s[10:11] offset:32
	;; [unrolled: 1-line block ×3, first 2 shown]
	s_and_saveexec_b64 s[10:11], s[4:5]
	s_cbranch_execz .LBB3_1687
; %bb.1680:
	v_mov_b32_e32 v10, 0
	global_load_dwordx2 v[13:14], v10, s[44:45] offset:32 glc
	global_load_dwordx2 v[0:1], v10, s[44:45] offset:40
	v_mov_b32_e32 v11, s6
	v_mov_b32_e32 v12, s7
	s_waitcnt vmcnt(0)
	v_readfirstlane_b32 s16, v0
	v_readfirstlane_b32 s17, v1
	s_and_b64 s[16:17], s[16:17], s[6:7]
	s_mul_i32 s15, s17, 24
	s_mul_hi_u32 s17, s16, 24
	s_mul_i32 s16, s16, 24
	s_add_i32 s15, s17, s15
	v_mov_b32_e32 v0, s15
	v_add_co_u32_e32 v4, vcc, s16, v4
	v_addc_co_u32_e32 v5, vcc, v5, v0, vcc
	global_store_dwordx2 v[4:5], v[13:14], off
	s_waitcnt vmcnt(0)
	global_atomic_cmpswap_x2 v[2:3], v10, v[11:14], s[44:45] offset:32 glc
	s_waitcnt vmcnt(0)
	v_cmp_ne_u64_e32 vcc, v[2:3], v[13:14]
	s_and_saveexec_b64 s[16:17], vcc
	s_cbranch_execz .LBB3_1683
; %bb.1681:
	s_mov_b64 s[18:19], 0
.LBB3_1682:                             ; =>This Inner Loop Header: Depth=1
	s_sleep 1
	global_store_dwordx2 v[4:5], v[2:3], off
	v_mov_b32_e32 v0, s6
	v_mov_b32_e32 v1, s7
	s_waitcnt vmcnt(0)
	global_atomic_cmpswap_x2 v[0:1], v10, v[0:3], s[44:45] offset:32 glc
	s_waitcnt vmcnt(0)
	v_cmp_eq_u64_e32 vcc, v[0:1], v[2:3]
	v_mov_b32_e32 v3, v1
	s_or_b64 s[18:19], vcc, s[18:19]
	v_mov_b32_e32 v2, v0
	s_andn2_b64 exec, exec, s[18:19]
	s_cbranch_execnz .LBB3_1682
.LBB3_1683:
	s_or_b64 exec, exec, s[16:17]
	v_mov_b32_e32 v3, 0
	global_load_dwordx2 v[0:1], v3, s[44:45] offset:16
	s_mov_b64 s[16:17], exec
	v_mbcnt_lo_u32_b32 v2, s16, 0
	v_mbcnt_hi_u32_b32 v2, s17, v2
	v_cmp_eq_u32_e32 vcc, 0, v2
	s_and_saveexec_b64 s[18:19], vcc
	s_cbranch_execz .LBB3_1685
; %bb.1684:
	s_bcnt1_i32_b64 s15, s[16:17]
	v_mov_b32_e32 v2, s15
	s_waitcnt vmcnt(0)
	global_atomic_add_x2 v[0:1], v[2:3], off offset:8
.LBB3_1685:
	s_or_b64 exec, exec, s[18:19]
	s_waitcnt vmcnt(0)
	global_load_dwordx2 v[2:3], v[0:1], off offset:16
	s_waitcnt vmcnt(0)
	v_cmp_eq_u64_e32 vcc, 0, v[2:3]
	s_cbranch_vccnz .LBB3_1687
; %bb.1686:
	global_load_dword v0, v[0:1], off offset:24
	v_mov_b32_e32 v1, 0
	s_waitcnt vmcnt(0)
	global_store_dwordx2 v[2:3], v[0:1], off
	v_and_b32_e32 v0, 0xffffff, v0
	v_readfirstlane_b32 m0, v0
	s_sendmsg sendmsg(MSG_INTERRUPT)
.LBB3_1687:
	s_or_b64 exec, exec, s[10:11]
	s_branch .LBB3_1691
.LBB3_1688:                             ;   in Loop: Header=BB3_1691 Depth=1
	s_or_b64 exec, exec, s[10:11]
	v_readfirstlane_b32 s10, v0
	s_cmp_eq_u32 s10, 0
	s_cbranch_scc1 .LBB3_1690
; %bb.1689:                             ;   in Loop: Header=BB3_1691 Depth=1
	s_sleep 1
	s_cbranch_execnz .LBB3_1691
	s_branch .LBB3_1693
.LBB3_1690:
	s_branch .LBB3_1693
.LBB3_1691:                             ; =>This Inner Loop Header: Depth=1
	v_mov_b32_e32 v0, 1
	s_and_saveexec_b64 s[10:11], s[4:5]
	s_cbranch_execz .LBB3_1688
; %bb.1692:                             ;   in Loop: Header=BB3_1691 Depth=1
	global_load_dword v0, v[8:9], off offset:20 glc
	s_waitcnt vmcnt(0)
	buffer_wbinvl1_vol
	v_and_b32_e32 v0, 1, v0
	s_branch .LBB3_1688
.LBB3_1693:
	global_load_dwordx2 v[2:3], v[6:7], off
	s_and_saveexec_b64 s[10:11], s[4:5]
	s_cbranch_execz .LBB3_1696
; %bb.1694:
	v_mov_b32_e32 v8, 0
	global_load_dwordx2 v[0:1], v8, s[44:45] offset:40
	global_load_dwordx2 v[9:10], v8, s[44:45] offset:24 glc
	global_load_dwordx2 v[11:12], v8, s[44:45]
	v_mov_b32_e32 v5, s7
	s_mov_b64 s[4:5], 0
	s_waitcnt vmcnt(2)
	v_add_co_u32_e32 v6, vcc, 1, v0
	v_addc_co_u32_e32 v7, vcc, 0, v1, vcc
	v_add_co_u32_e32 v4, vcc, s6, v6
	v_addc_co_u32_e32 v5, vcc, v7, v5, vcc
	v_cmp_eq_u64_e32 vcc, 0, v[4:5]
	v_cndmask_b32_e32 v5, v5, v7, vcc
	v_cndmask_b32_e32 v4, v4, v6, vcc
	v_and_b32_e32 v1, v5, v1
	v_and_b32_e32 v0, v4, v0
	v_mul_lo_u32 v1, v1, 24
	v_mul_hi_u32 v7, v0, 24
	v_mul_lo_u32 v0, v0, 24
	s_waitcnt vmcnt(1)
	v_mov_b32_e32 v6, v9
	v_add_u32_e32 v1, v7, v1
	s_waitcnt vmcnt(0)
	v_add_co_u32_e32 v0, vcc, v11, v0
	v_addc_co_u32_e32 v1, vcc, v12, v1, vcc
	global_store_dwordx2 v[0:1], v[9:10], off
	v_mov_b32_e32 v7, v10
	s_waitcnt vmcnt(0)
	global_atomic_cmpswap_x2 v[6:7], v8, v[4:7], s[44:45] offset:24 glc
	s_waitcnt vmcnt(0)
	v_cmp_ne_u64_e32 vcc, v[6:7], v[9:10]
	s_and_b64 exec, exec, vcc
	s_cbranch_execz .LBB3_1696
.LBB3_1695:                             ; =>This Inner Loop Header: Depth=1
	s_sleep 1
	global_store_dwordx2 v[0:1], v[6:7], off
	s_waitcnt vmcnt(0)
	global_atomic_cmpswap_x2 v[9:10], v8, v[4:7], s[44:45] offset:24 glc
	s_waitcnt vmcnt(0)
	v_cmp_eq_u64_e32 vcc, v[9:10], v[6:7]
	v_mov_b32_e32 v6, v9
	s_or_b64 s[4:5], vcc, s[4:5]
	v_mov_b32_e32 v7, v10
	s_andn2_b64 exec, exec, s[4:5]
	s_cbranch_execnz .LBB3_1695
.LBB3_1696:
	s_or_b64 exec, exec, s[10:11]
.LBB3_1697:
	v_readfirstlane_b32 s4, v51
	s_waitcnt vmcnt(0)
	v_mov_b32_e32 v0, 0
	v_mov_b32_e32 v1, 0
	v_cmp_eq_u32_e64 s[4:5], s4, v51
	s_and_saveexec_b64 s[6:7], s[4:5]
	s_cbranch_execz .LBB3_1703
; %bb.1698:
	v_mov_b32_e32 v4, 0
	global_load_dwordx2 v[7:8], v4, s[44:45] offset:24 glc
	s_waitcnt vmcnt(0)
	buffer_wbinvl1_vol
	global_load_dwordx2 v[0:1], v4, s[44:45] offset:40
	global_load_dwordx2 v[5:6], v4, s[44:45]
	s_waitcnt vmcnt(1)
	v_and_b32_e32 v0, v0, v7
	v_and_b32_e32 v1, v1, v8
	v_mul_lo_u32 v1, v1, 24
	v_mul_hi_u32 v9, v0, 24
	v_mul_lo_u32 v0, v0, 24
	v_add_u32_e32 v1, v9, v1
	s_waitcnt vmcnt(0)
	v_add_co_u32_e32 v0, vcc, v5, v0
	v_addc_co_u32_e32 v1, vcc, v6, v1, vcc
	global_load_dwordx2 v[5:6], v[0:1], off glc
	s_waitcnt vmcnt(0)
	global_atomic_cmpswap_x2 v[0:1], v4, v[5:8], s[44:45] offset:24 glc
	s_waitcnt vmcnt(0)
	buffer_wbinvl1_vol
	v_cmp_ne_u64_e32 vcc, v[0:1], v[7:8]
	s_and_saveexec_b64 s[10:11], vcc
	s_cbranch_execz .LBB3_1702
; %bb.1699:
	s_mov_b64 s[16:17], 0
.LBB3_1700:                             ; =>This Inner Loop Header: Depth=1
	s_sleep 1
	global_load_dwordx2 v[5:6], v4, s[44:45] offset:40
	global_load_dwordx2 v[9:10], v4, s[44:45]
	v_mov_b32_e32 v8, v1
	v_mov_b32_e32 v7, v0
	s_waitcnt vmcnt(1)
	v_and_b32_e32 v0, v5, v7
	s_waitcnt vmcnt(0)
	v_mad_u64_u32 v[0:1], s[18:19], v0, 24, v[9:10]
	v_and_b32_e32 v5, v6, v8
	v_mad_u64_u32 v[5:6], s[18:19], v5, 24, v[1:2]
	v_mov_b32_e32 v1, v5
	global_load_dwordx2 v[5:6], v[0:1], off glc
	s_waitcnt vmcnt(0)
	global_atomic_cmpswap_x2 v[0:1], v4, v[5:8], s[44:45] offset:24 glc
	s_waitcnt vmcnt(0)
	buffer_wbinvl1_vol
	v_cmp_eq_u64_e32 vcc, v[0:1], v[7:8]
	s_or_b64 s[16:17], vcc, s[16:17]
	s_andn2_b64 exec, exec, s[16:17]
	s_cbranch_execnz .LBB3_1700
; %bb.1701:
	s_or_b64 exec, exec, s[16:17]
.LBB3_1702:
	s_or_b64 exec, exec, s[10:11]
.LBB3_1703:
	s_or_b64 exec, exec, s[6:7]
	v_mov_b32_e32 v5, 0
	global_load_dwordx2 v[10:11], v5, s[44:45] offset:40
	global_load_dwordx4 v[6:9], v5, s[44:45]
	v_readfirstlane_b32 s6, v0
	v_readfirstlane_b32 s7, v1
	s_mov_b64 s[10:11], exec
	s_waitcnt vmcnt(1)
	v_readfirstlane_b32 s16, v10
	v_readfirstlane_b32 s17, v11
	s_and_b64 s[16:17], s[6:7], s[16:17]
	s_mul_i32 s15, s17, 24
	s_mul_hi_u32 s18, s16, 24
	s_mul_i32 s19, s16, 24
	s_add_i32 s15, s18, s15
	v_mov_b32_e32 v0, s15
	s_waitcnt vmcnt(0)
	v_add_co_u32_e32 v10, vcc, s19, v6
	v_addc_co_u32_e32 v11, vcc, v7, v0, vcc
	s_and_saveexec_b64 s[18:19], s[4:5]
	s_cbranch_execz .LBB3_1705
; %bb.1704:
	v_mov_b32_e32 v13, s11
	v_mov_b32_e32 v12, s10
	;; [unrolled: 1-line block ×4, first 2 shown]
	global_store_dwordx4 v[10:11], v[12:15], off offset:8
.LBB3_1705:
	s_or_b64 exec, exec, s[18:19]
	s_lshl_b64 s[10:11], s[16:17], 12
	v_mov_b32_e32 v0, s11
	v_add_co_u32_e32 v1, vcc, s10, v8
	v_addc_co_u32_e32 v0, vcc, v9, v0, vcc
	s_movk_i32 s10, 0xff1d
	v_and_or_b32 v2, v2, s10, 34
	s_mov_b32 s16, 0
	v_mov_b32_e32 v4, 10
	v_readfirstlane_b32 s10, v1
	v_readfirstlane_b32 s11, v0
	s_mov_b32 s17, s16
	s_mov_b32 s18, s16
	;; [unrolled: 1-line block ×3, first 2 shown]
	s_nop 1
	global_store_dwordx4 v50, v[2:5], s[10:11]
	v_mov_b32_e32 v0, s16
	v_mov_b32_e32 v1, s17
	;; [unrolled: 1-line block ×4, first 2 shown]
	global_store_dwordx4 v50, v[0:3], s[10:11] offset:16
	global_store_dwordx4 v50, v[0:3], s[10:11] offset:32
	global_store_dwordx4 v50, v[0:3], s[10:11] offset:48
	s_and_saveexec_b64 s[10:11], s[4:5]
	s_cbranch_execz .LBB3_1713
; %bb.1706:
	v_mov_b32_e32 v8, 0
	global_load_dwordx2 v[14:15], v8, s[44:45] offset:32 glc
	global_load_dwordx2 v[0:1], v8, s[44:45] offset:40
	v_mov_b32_e32 v12, s6
	v_mov_b32_e32 v13, s7
	s_waitcnt vmcnt(0)
	v_readfirstlane_b32 s16, v0
	v_readfirstlane_b32 s17, v1
	s_and_b64 s[16:17], s[16:17], s[6:7]
	s_mul_i32 s15, s17, 24
	s_mul_hi_u32 s17, s16, 24
	s_mul_i32 s16, s16, 24
	s_add_i32 s15, s17, s15
	v_mov_b32_e32 v0, s15
	v_add_co_u32_e32 v4, vcc, s16, v6
	v_addc_co_u32_e32 v5, vcc, v7, v0, vcc
	global_store_dwordx2 v[4:5], v[14:15], off
	s_waitcnt vmcnt(0)
	global_atomic_cmpswap_x2 v[2:3], v8, v[12:15], s[44:45] offset:32 glc
	s_waitcnt vmcnt(0)
	v_cmp_ne_u64_e32 vcc, v[2:3], v[14:15]
	s_and_saveexec_b64 s[16:17], vcc
	s_cbranch_execz .LBB3_1709
; %bb.1707:
	s_mov_b64 s[18:19], 0
.LBB3_1708:                             ; =>This Inner Loop Header: Depth=1
	s_sleep 1
	global_store_dwordx2 v[4:5], v[2:3], off
	v_mov_b32_e32 v0, s6
	v_mov_b32_e32 v1, s7
	s_waitcnt vmcnt(0)
	global_atomic_cmpswap_x2 v[0:1], v8, v[0:3], s[44:45] offset:32 glc
	s_waitcnt vmcnt(0)
	v_cmp_eq_u64_e32 vcc, v[0:1], v[2:3]
	v_mov_b32_e32 v3, v1
	s_or_b64 s[18:19], vcc, s[18:19]
	v_mov_b32_e32 v2, v0
	s_andn2_b64 exec, exec, s[18:19]
	s_cbranch_execnz .LBB3_1708
.LBB3_1709:
	s_or_b64 exec, exec, s[16:17]
	v_mov_b32_e32 v3, 0
	global_load_dwordx2 v[0:1], v3, s[44:45] offset:16
	s_mov_b64 s[16:17], exec
	v_mbcnt_lo_u32_b32 v2, s16, 0
	v_mbcnt_hi_u32_b32 v2, s17, v2
	v_cmp_eq_u32_e32 vcc, 0, v2
	s_and_saveexec_b64 s[18:19], vcc
	s_cbranch_execz .LBB3_1711
; %bb.1710:
	s_bcnt1_i32_b64 s15, s[16:17]
	v_mov_b32_e32 v2, s15
	s_waitcnt vmcnt(0)
	global_atomic_add_x2 v[0:1], v[2:3], off offset:8
.LBB3_1711:
	s_or_b64 exec, exec, s[18:19]
	s_waitcnt vmcnt(0)
	global_load_dwordx2 v[2:3], v[0:1], off offset:16
	s_waitcnt vmcnt(0)
	v_cmp_eq_u64_e32 vcc, 0, v[2:3]
	s_cbranch_vccnz .LBB3_1713
; %bb.1712:
	global_load_dword v0, v[0:1], off offset:24
	v_mov_b32_e32 v1, 0
	s_waitcnt vmcnt(0)
	global_store_dwordx2 v[2:3], v[0:1], off
	v_and_b32_e32 v0, 0xffffff, v0
	v_readfirstlane_b32 m0, v0
	s_sendmsg sendmsg(MSG_INTERRUPT)
.LBB3_1713:
	s_or_b64 exec, exec, s[10:11]
	s_branch .LBB3_1717
.LBB3_1714:                             ;   in Loop: Header=BB3_1717 Depth=1
	s_or_b64 exec, exec, s[10:11]
	v_readfirstlane_b32 s10, v0
	s_cmp_eq_u32 s10, 0
	s_cbranch_scc1 .LBB3_1716
; %bb.1715:                             ;   in Loop: Header=BB3_1717 Depth=1
	s_sleep 1
	s_cbranch_execnz .LBB3_1717
	s_branch .LBB3_1719
.LBB3_1716:
	s_branch .LBB3_1719
.LBB3_1717:                             ; =>This Inner Loop Header: Depth=1
	v_mov_b32_e32 v0, 1
	s_and_saveexec_b64 s[10:11], s[4:5]
	s_cbranch_execz .LBB3_1714
; %bb.1718:                             ;   in Loop: Header=BB3_1717 Depth=1
	global_load_dword v0, v[10:11], off offset:20 glc
	s_waitcnt vmcnt(0)
	buffer_wbinvl1_vol
	v_and_b32_e32 v0, 1, v0
	s_branch .LBB3_1714
.LBB3_1719:
	s_and_saveexec_b64 s[10:11], s[4:5]
	s_cbranch_execz .LBB3_1722
; %bb.1720:
	v_mov_b32_e32 v6, 0
	global_load_dwordx2 v[2:3], v6, s[44:45] offset:40
	global_load_dwordx2 v[7:8], v6, s[44:45] offset:24 glc
	global_load_dwordx2 v[4:5], v6, s[44:45]
	v_mov_b32_e32 v1, s7
	s_mov_b64 s[4:5], 0
	s_waitcnt vmcnt(2)
	v_add_co_u32_e32 v9, vcc, 1, v2
	v_addc_co_u32_e32 v10, vcc, 0, v3, vcc
	v_add_co_u32_e32 v0, vcc, s6, v9
	v_addc_co_u32_e32 v1, vcc, v10, v1, vcc
	v_cmp_eq_u64_e32 vcc, 0, v[0:1]
	v_cndmask_b32_e32 v1, v1, v10, vcc
	v_cndmask_b32_e32 v0, v0, v9, vcc
	v_and_b32_e32 v3, v1, v3
	v_and_b32_e32 v2, v0, v2
	v_mul_lo_u32 v3, v3, 24
	v_mul_hi_u32 v9, v2, 24
	v_mul_lo_u32 v10, v2, 24
	s_waitcnt vmcnt(1)
	v_mov_b32_e32 v2, v7
	v_add_u32_e32 v3, v9, v3
	s_waitcnt vmcnt(0)
	v_add_co_u32_e32 v4, vcc, v4, v10
	v_addc_co_u32_e32 v5, vcc, v5, v3, vcc
	global_store_dwordx2 v[4:5], v[7:8], off
	v_mov_b32_e32 v3, v8
	s_waitcnt vmcnt(0)
	global_atomic_cmpswap_x2 v[2:3], v6, v[0:3], s[44:45] offset:24 glc
	s_waitcnt vmcnt(0)
	v_cmp_ne_u64_e32 vcc, v[2:3], v[7:8]
	s_and_b64 exec, exec, vcc
	s_cbranch_execz .LBB3_1722
.LBB3_1721:                             ; =>This Inner Loop Header: Depth=1
	s_sleep 1
	global_store_dwordx2 v[4:5], v[2:3], off
	s_waitcnt vmcnt(0)
	global_atomic_cmpswap_x2 v[7:8], v6, v[0:3], s[44:45] offset:24 glc
	s_waitcnt vmcnt(0)
	v_cmp_eq_u64_e32 vcc, v[7:8], v[2:3]
	v_mov_b32_e32 v2, v7
	s_or_b64 s[4:5], vcc, s[4:5]
	v_mov_b32_e32 v3, v8
	s_andn2_b64 exec, exec, s[4:5]
	s_cbranch_execnz .LBB3_1721
.LBB3_1722:
	s_or_b64 exec, exec, s[10:11]
	flat_load_dwordx2 v[0:1], v[48:49]
	s_waitcnt vmcnt(0) lgkmcnt(0)
	flat_load_dword v2, v[0:1]
	s_waitcnt vmcnt(0) lgkmcnt(0)
	v_add_u32_e32 v2, 1, v2
	flat_store_dword v[0:1], v2
.LBB3_1723:
	s_or_b64 exec, exec, s[42:43]
	s_getpc_b64 s[4:5]
	s_add_u32 s4, s4, _ZN8migraphx4test4failEv@rel32@lo+4
	s_addc_u32 s5, s5, _ZN8migraphx4test4failEv@rel32@hi+12
	s_swappc_b64 s[30:31], s[4:5]
	; divergent unreachable
.LBB3_1724:
	s_or_b64 exec, exec, s[40:41]
	v_readlane_b32 s30, v41, 0
	v_readlane_b32 s31, v41, 1
	;; [unrolled: 1-line block ×3, first 2 shown]
	s_or_saveexec_b64 s[6:7], -1
	buffer_load_dword v41, off, s[0:3], s33 ; 4-byte Folded Reload
	s_mov_b64 exec, s[6:7]
	s_addk_i32 s32, 0xfc00
	s_mov_b32 s33, s4
	s_waitcnt vmcnt(0)
	s_setpc_b64 s[30:31]
.Lfunc_end3:
	.size	_ZN8migraphx4test12test_manager6failedINS0_10expressionINS0_14lhs_expressionIRiNS0_3nopEEEiNS0_5equalEEEPFvvEEEvRKT_PKcSG_SG_iT0_, .Lfunc_end3-_ZN8migraphx4test12test_manager6failedINS0_10expressionINS0_14lhs_expressionIRiNS0_3nopEEEiNS0_5equalEEEPFvvEEEvRKT_PKcSG_SG_iT0_
                                        ; -- End function
	.section	.AMDGPU.csdata,"",@progbits
; Function info:
; codeLenInByte = 58828
; NumSgprs: 58
; NumVgprs: 52
; ScratchSize: 32
; MemoryBound: 0
	.text
	.p2align	2                               ; -- Begin function _ZN8migraphx4test12print_streamIKNS_13basic_printerIZNS_4coutEvEUlT_E_EEPiEEvRS3_RKT0_
	.type	_ZN8migraphx4test12print_streamIKNS_13basic_printerIZNS_4coutEvEUlT_E_EEPiEEvRS3_RKT0_,@function
_ZN8migraphx4test12print_streamIKNS_13basic_printerIZNS_4coutEvEUlT_E_EEPiEEvRS3_RKT0_: ; @_ZN8migraphx4test12print_streamIKNS_13basic_printerIZNS_4coutEvEUlT_E_EEPiEEvRS3_RKT0_
; %bb.0:
	s_waitcnt vmcnt(0) expcnt(0) lgkmcnt(0)
	s_load_dwordx2 s[6:7], s[8:9], 0x50
	v_cmp_ne_u64_e32 vcc, 0, v[0:1]
	v_mbcnt_lo_u32_b32 v0, -1, 0
	v_mbcnt_hi_u32_b32 v29, -1, v0
	s_and_saveexec_b64 s[4:5], vcc
	s_xor_b64 s[8:9], exec, s[4:5]
	s_cbranch_execz .LBB4_111
; %bb.1:
	v_readfirstlane_b32 s4, v29
	v_mov_b32_e32 v5, 0
	v_mov_b32_e32 v6, 0
	v_cmp_eq_u32_e64 s[4:5], s4, v29
	s_and_saveexec_b64 s[10:11], s[4:5]
	s_cbranch_execz .LBB4_7
; %bb.2:
	v_mov_b32_e32 v0, 0
	s_waitcnt lgkmcnt(0)
	global_load_dwordx2 v[3:4], v0, s[6:7] offset:24 glc
	s_waitcnt vmcnt(0)
	buffer_wbinvl1_vol
	global_load_dwordx2 v[1:2], v0, s[6:7] offset:40
	global_load_dwordx2 v[5:6], v0, s[6:7]
	s_waitcnt vmcnt(1)
	v_and_b32_e32 v1, v1, v3
	v_and_b32_e32 v2, v2, v4
	v_mul_lo_u32 v2, v2, 24
	v_mul_hi_u32 v7, v1, 24
	v_mul_lo_u32 v1, v1, 24
	v_add_u32_e32 v2, v7, v2
	s_waitcnt vmcnt(0)
	v_add_co_u32_e32 v1, vcc, v5, v1
	v_addc_co_u32_e32 v2, vcc, v6, v2, vcc
	global_load_dwordx2 v[1:2], v[1:2], off glc
	s_waitcnt vmcnt(0)
	global_atomic_cmpswap_x2 v[5:6], v0, v[1:4], s[6:7] offset:24 glc
	s_waitcnt vmcnt(0)
	buffer_wbinvl1_vol
	v_cmp_ne_u64_e32 vcc, v[5:6], v[3:4]
	s_and_saveexec_b64 s[12:13], vcc
	s_cbranch_execz .LBB4_6
; %bb.3:
	s_mov_b64 s[14:15], 0
.LBB4_4:                                ; =>This Inner Loop Header: Depth=1
	s_sleep 1
	global_load_dwordx2 v[1:2], v0, s[6:7] offset:40
	global_load_dwordx2 v[7:8], v0, s[6:7]
	v_mov_b32_e32 v3, v5
	v_mov_b32_e32 v4, v6
	s_waitcnt vmcnt(1)
	v_and_b32_e32 v1, v1, v3
	s_waitcnt vmcnt(0)
	v_mad_u64_u32 v[5:6], s[16:17], v1, 24, v[7:8]
	v_and_b32_e32 v2, v2, v4
	v_mov_b32_e32 v1, v6
	v_mad_u64_u32 v[1:2], s[16:17], v2, 24, v[1:2]
	v_mov_b32_e32 v6, v1
	global_load_dwordx2 v[1:2], v[5:6], off glc
	s_waitcnt vmcnt(0)
	global_atomic_cmpswap_x2 v[5:6], v0, v[1:4], s[6:7] offset:24 glc
	s_waitcnt vmcnt(0)
	buffer_wbinvl1_vol
	v_cmp_eq_u64_e32 vcc, v[5:6], v[3:4]
	s_or_b64 s[14:15], vcc, s[14:15]
	s_andn2_b64 exec, exec, s[14:15]
	s_cbranch_execnz .LBB4_4
; %bb.5:
	s_or_b64 exec, exec, s[14:15]
.LBB4_6:
	s_or_b64 exec, exec, s[12:13]
.LBB4_7:
	s_or_b64 exec, exec, s[10:11]
	v_mov_b32_e32 v4, 0
	s_waitcnt lgkmcnt(0)
	global_load_dwordx2 v[7:8], v4, s[6:7] offset:40
	global_load_dwordx4 v[0:3], v4, s[6:7]
	v_readfirstlane_b32 s10, v5
	v_readfirstlane_b32 s11, v6
	s_mov_b64 s[12:13], exec
	s_waitcnt vmcnt(1)
	v_readfirstlane_b32 s14, v7
	v_readfirstlane_b32 s15, v8
	s_and_b64 s[14:15], s[10:11], s[14:15]
	s_mul_i32 s16, s15, 24
	s_mul_hi_u32 s17, s14, 24
	s_mul_i32 s18, s14, 24
	s_add_i32 s16, s17, s16
	v_mov_b32_e32 v5, s16
	s_waitcnt vmcnt(0)
	v_add_co_u32_e32 v7, vcc, s18, v0
	v_addc_co_u32_e32 v8, vcc, v1, v5, vcc
	s_and_saveexec_b64 s[16:17], s[4:5]
	s_cbranch_execz .LBB4_9
; %bb.8:
	v_mov_b32_e32 v9, s12
	v_mov_b32_e32 v10, s13
	;; [unrolled: 1-line block ×4, first 2 shown]
	global_store_dwordx4 v[7:8], v[9:12], off offset:8
.LBB4_9:
	s_or_b64 exec, exec, s[16:17]
	s_lshl_b64 s[12:13], s[14:15], 12
	v_mov_b32_e32 v5, s13
	v_add_co_u32_e32 v2, vcc, s12, v2
	v_addc_co_u32_e32 v11, vcc, v3, v5, vcc
	s_mov_b32 s12, 0
	v_lshlrev_b32_e32 v30, 6, v29
	v_mov_b32_e32 v3, 33
	v_mov_b32_e32 v5, v4
	;; [unrolled: 1-line block ×3, first 2 shown]
	v_readfirstlane_b32 s16, v2
	v_readfirstlane_b32 s17, v11
	v_add_co_u32_e32 v9, vcc, v2, v30
	s_mov_b32 s13, s12
	s_mov_b32 s14, s12
	s_mov_b32 s15, s12
	s_nop 0
	global_store_dwordx4 v30, v[3:6], s[16:17]
	v_mov_b32_e32 v2, s12
	v_addc_co_u32_e32 v10, vcc, 0, v11, vcc
	v_mov_b32_e32 v3, s13
	v_mov_b32_e32 v4, s14
	;; [unrolled: 1-line block ×3, first 2 shown]
	global_store_dwordx4 v30, v[2:5], s[16:17] offset:16
	global_store_dwordx4 v30, v[2:5], s[16:17] offset:32
	;; [unrolled: 1-line block ×3, first 2 shown]
	s_and_saveexec_b64 s[12:13], s[4:5]
	s_cbranch_execz .LBB4_17
; %bb.10:
	v_mov_b32_e32 v6, 0
	global_load_dwordx2 v[13:14], v6, s[6:7] offset:32 glc
	global_load_dwordx2 v[2:3], v6, s[6:7] offset:40
	v_mov_b32_e32 v11, s10
	v_mov_b32_e32 v12, s11
	s_waitcnt vmcnt(0)
	v_and_b32_e32 v2, s10, v2
	v_and_b32_e32 v3, s11, v3
	v_mul_lo_u32 v3, v3, 24
	v_mul_hi_u32 v4, v2, 24
	v_mul_lo_u32 v2, v2, 24
	v_add_u32_e32 v3, v4, v3
	v_add_co_u32_e32 v4, vcc, v0, v2
	v_addc_co_u32_e32 v5, vcc, v1, v3, vcc
	global_store_dwordx2 v[4:5], v[13:14], off
	s_waitcnt vmcnt(0)
	global_atomic_cmpswap_x2 v[2:3], v6, v[11:14], s[6:7] offset:32 glc
	s_waitcnt vmcnt(0)
	v_cmp_ne_u64_e32 vcc, v[2:3], v[13:14]
	s_and_saveexec_b64 s[14:15], vcc
	s_cbranch_execz .LBB4_13
; %bb.11:
	s_mov_b64 s[16:17], 0
.LBB4_12:                               ; =>This Inner Loop Header: Depth=1
	s_sleep 1
	global_store_dwordx2 v[4:5], v[2:3], off
	v_mov_b32_e32 v0, s10
	v_mov_b32_e32 v1, s11
	s_waitcnt vmcnt(0)
	global_atomic_cmpswap_x2 v[0:1], v6, v[0:3], s[6:7] offset:32 glc
	s_waitcnt vmcnt(0)
	v_cmp_eq_u64_e32 vcc, v[0:1], v[2:3]
	v_mov_b32_e32 v3, v1
	s_or_b64 s[16:17], vcc, s[16:17]
	v_mov_b32_e32 v2, v0
	s_andn2_b64 exec, exec, s[16:17]
	s_cbranch_execnz .LBB4_12
.LBB4_13:
	s_or_b64 exec, exec, s[14:15]
	v_mov_b32_e32 v3, 0
	global_load_dwordx2 v[0:1], v3, s[6:7] offset:16
	s_mov_b64 s[14:15], exec
	v_mbcnt_lo_u32_b32 v2, s14, 0
	v_mbcnt_hi_u32_b32 v2, s15, v2
	v_cmp_eq_u32_e32 vcc, 0, v2
	s_and_saveexec_b64 s[16:17], vcc
	s_cbranch_execz .LBB4_15
; %bb.14:
	s_bcnt1_i32_b64 s14, s[14:15]
	v_mov_b32_e32 v2, s14
	s_waitcnt vmcnt(0)
	global_atomic_add_x2 v[0:1], v[2:3], off offset:8
.LBB4_15:
	s_or_b64 exec, exec, s[16:17]
	s_waitcnt vmcnt(0)
	global_load_dwordx2 v[2:3], v[0:1], off offset:16
	s_waitcnt vmcnt(0)
	v_cmp_eq_u64_e32 vcc, 0, v[2:3]
	s_cbranch_vccnz .LBB4_17
; %bb.16:
	global_load_dword v0, v[0:1], off offset:24
	v_mov_b32_e32 v1, 0
	s_waitcnt vmcnt(0)
	global_store_dwordx2 v[2:3], v[0:1], off
	v_and_b32_e32 v0, 0xffffff, v0
	v_readfirstlane_b32 m0, v0
	s_sendmsg sendmsg(MSG_INTERRUPT)
.LBB4_17:
	s_or_b64 exec, exec, s[12:13]
	s_branch .LBB4_21
.LBB4_18:                               ;   in Loop: Header=BB4_21 Depth=1
	s_or_b64 exec, exec, s[12:13]
	v_readfirstlane_b32 s12, v0
	s_cmp_eq_u32 s12, 0
	s_cbranch_scc1 .LBB4_20
; %bb.19:                               ;   in Loop: Header=BB4_21 Depth=1
	s_sleep 1
	s_cbranch_execnz .LBB4_21
	s_branch .LBB4_23
.LBB4_20:
	s_branch .LBB4_23
.LBB4_21:                               ; =>This Inner Loop Header: Depth=1
	v_mov_b32_e32 v0, 1
	s_and_saveexec_b64 s[12:13], s[4:5]
	s_cbranch_execz .LBB4_18
; %bb.22:                               ;   in Loop: Header=BB4_21 Depth=1
	global_load_dword v0, v[7:8], off offset:20 glc
	s_waitcnt vmcnt(0)
	buffer_wbinvl1_vol
	v_and_b32_e32 v0, 1, v0
	s_branch .LBB4_18
.LBB4_23:
	global_load_dwordx2 v[0:1], v[9:10], off
	s_and_saveexec_b64 s[12:13], s[4:5]
	s_cbranch_execz .LBB4_26
; %bb.24:
	v_mov_b32_e32 v8, 0
	global_load_dwordx2 v[4:5], v8, s[6:7] offset:40
	global_load_dwordx2 v[9:10], v8, s[6:7] offset:24 glc
	global_load_dwordx2 v[6:7], v8, s[6:7]
	v_mov_b32_e32 v3, s11
	s_mov_b64 s[4:5], 0
	s_waitcnt vmcnt(2)
	v_add_co_u32_e32 v11, vcc, 1, v4
	v_addc_co_u32_e32 v12, vcc, 0, v5, vcc
	v_add_co_u32_e32 v2, vcc, s10, v11
	v_addc_co_u32_e32 v3, vcc, v12, v3, vcc
	v_cmp_eq_u64_e32 vcc, 0, v[2:3]
	v_cndmask_b32_e32 v3, v3, v12, vcc
	v_cndmask_b32_e32 v2, v2, v11, vcc
	v_and_b32_e32 v5, v3, v5
	v_and_b32_e32 v4, v2, v4
	v_mul_lo_u32 v5, v5, 24
	v_mul_hi_u32 v11, v4, 24
	v_mul_lo_u32 v12, v4, 24
	s_waitcnt vmcnt(1)
	v_mov_b32_e32 v4, v9
	v_add_u32_e32 v5, v11, v5
	s_waitcnt vmcnt(0)
	v_add_co_u32_e32 v6, vcc, v6, v12
	v_addc_co_u32_e32 v7, vcc, v7, v5, vcc
	global_store_dwordx2 v[6:7], v[9:10], off
	v_mov_b32_e32 v5, v10
	s_waitcnt vmcnt(0)
	global_atomic_cmpswap_x2 v[4:5], v8, v[2:5], s[6:7] offset:24 glc
	s_waitcnt vmcnt(0)
	v_cmp_ne_u64_e32 vcc, v[4:5], v[9:10]
	s_and_b64 exec, exec, vcc
	s_cbranch_execz .LBB4_26
.LBB4_25:                               ; =>This Inner Loop Header: Depth=1
	s_sleep 1
	global_store_dwordx2 v[6:7], v[4:5], off
	s_waitcnt vmcnt(0)
	global_atomic_cmpswap_x2 v[9:10], v8, v[2:5], s[6:7] offset:24 glc
	s_waitcnt vmcnt(0)
	v_cmp_eq_u64_e32 vcc, v[9:10], v[4:5]
	v_mov_b32_e32 v4, v9
	s_or_b64 s[4:5], vcc, s[4:5]
	v_mov_b32_e32 v5, v10
	s_andn2_b64 exec, exec, s[4:5]
	s_cbranch_execnz .LBB4_25
.LBB4_26:
	s_or_b64 exec, exec, s[12:13]
	s_getpc_b64 s[10:11]
	s_add_u32 s10, s10, .str.14@rel32@lo+4
	s_addc_u32 s11, s11, .str.14@rel32@hi+12
	s_cmp_lg_u64 s[10:11], 0
	s_cbranch_scc0 .LBB4_223
; %bb.27:
	s_waitcnt vmcnt(0)
	v_and_b32_e32 v6, -3, v0
	v_mov_b32_e32 v7, v1
	s_mov_b64 s[12:13], 5
	v_mov_b32_e32 v26, 0
	v_mov_b32_e32 v4, 2
	;; [unrolled: 1-line block ×3, first 2 shown]
	s_branch .LBB4_29
.LBB4_28:                               ;   in Loop: Header=BB4_29 Depth=1
	s_or_b64 exec, exec, s[18:19]
	s_sub_u32 s12, s12, s14
	s_subb_u32 s13, s13, s15
	s_add_u32 s10, s10, s14
	s_addc_u32 s11, s11, s15
	s_cmp_eq_u64 s[12:13], 0
	s_cbranch_scc1 .LBB4_110
.LBB4_29:                               ; =>This Loop Header: Depth=1
                                        ;     Child Loop BB4_32 Depth 2
                                        ;     Child Loop BB4_39 Depth 2
	;; [unrolled: 1-line block ×11, first 2 shown]
	v_cmp_lt_u64_e64 s[4:5], s[12:13], 56
	v_cmp_gt_u64_e64 s[16:17], s[12:13], 7
	s_and_b64 s[4:5], s[4:5], exec
	s_cselect_b32 s15, s13, 0
	s_cselect_b32 s14, s12, 56
	s_and_b64 vcc, exec, s[16:17]
	s_cbranch_vccnz .LBB4_34
; %bb.30:                               ;   in Loop: Header=BB4_29 Depth=1
	s_waitcnt vmcnt(0)
	v_mov_b32_e32 v8, 0
	s_cmp_eq_u64 s[12:13], 0
	v_mov_b32_e32 v9, 0
	s_mov_b64 s[4:5], 0
	s_cbranch_scc1 .LBB4_33
; %bb.31:                               ;   in Loop: Header=BB4_29 Depth=1
	v_mov_b32_e32 v8, 0
	s_lshl_b64 s[16:17], s[14:15], 3
	s_mov_b64 s[18:19], 0
	v_mov_b32_e32 v9, 0
	s_mov_b64 s[20:21], s[10:11]
.LBB4_32:                               ;   Parent Loop BB4_29 Depth=1
                                        ; =>  This Inner Loop Header: Depth=2
	global_load_ubyte v2, v26, s[20:21]
	s_waitcnt vmcnt(0)
	v_and_b32_e32 v25, 0xffff, v2
	v_lshlrev_b64 v[2:3], s18, v[25:26]
	s_add_u32 s18, s18, 8
	s_addc_u32 s19, s19, 0
	s_add_u32 s20, s20, 1
	s_addc_u32 s21, s21, 0
	v_or_b32_e32 v8, v2, v8
	s_cmp_lg_u32 s16, s18
	v_or_b32_e32 v9, v3, v9
	s_cbranch_scc1 .LBB4_32
.LBB4_33:                               ;   in Loop: Header=BB4_29 Depth=1
	s_mov_b32 s20, 0
	s_andn2_b64 vcc, exec, s[4:5]
	s_mov_b64 s[4:5], s[10:11]
	s_cbranch_vccz .LBB4_35
	s_branch .LBB4_36
.LBB4_34:                               ;   in Loop: Header=BB4_29 Depth=1
                                        ; implicit-def: $sgpr20
	s_mov_b64 s[4:5], s[10:11]
.LBB4_35:                               ;   in Loop: Header=BB4_29 Depth=1
	global_load_dwordx2 v[8:9], v26, s[10:11]
	s_add_i32 s20, s14, -8
	s_add_u32 s4, s10, 8
	s_addc_u32 s5, s11, 0
.LBB4_36:                               ;   in Loop: Header=BB4_29 Depth=1
	s_cmp_gt_u32 s20, 7
	s_cbranch_scc1 .LBB4_40
; %bb.37:                               ;   in Loop: Header=BB4_29 Depth=1
	s_cmp_eq_u32 s20, 0
	s_cbranch_scc1 .LBB4_41
; %bb.38:                               ;   in Loop: Header=BB4_29 Depth=1
	v_mov_b32_e32 v10, 0
	s_mov_b64 s[16:17], 0
	v_mov_b32_e32 v11, 0
	s_mov_b64 s[18:19], 0
.LBB4_39:                               ;   Parent Loop BB4_29 Depth=1
                                        ; =>  This Inner Loop Header: Depth=2
	s_add_u32 s22, s4, s18
	s_addc_u32 s23, s5, s19
	global_load_ubyte v2, v26, s[22:23]
	s_add_u32 s18, s18, 1
	s_addc_u32 s19, s19, 0
	s_waitcnt vmcnt(0)
	v_and_b32_e32 v25, 0xffff, v2
	v_lshlrev_b64 v[2:3], s16, v[25:26]
	s_add_u32 s16, s16, 8
	s_addc_u32 s17, s17, 0
	v_or_b32_e32 v10, v2, v10
	s_cmp_lg_u32 s20, s18
	v_or_b32_e32 v11, v3, v11
	s_cbranch_scc1 .LBB4_39
	s_branch .LBB4_42
.LBB4_40:                               ;   in Loop: Header=BB4_29 Depth=1
                                        ; implicit-def: $vgpr10_vgpr11
                                        ; implicit-def: $sgpr21
	s_branch .LBB4_43
.LBB4_41:                               ;   in Loop: Header=BB4_29 Depth=1
	v_mov_b32_e32 v10, 0
	v_mov_b32_e32 v11, 0
.LBB4_42:                               ;   in Loop: Header=BB4_29 Depth=1
	s_mov_b32 s21, 0
	s_cbranch_execnz .LBB4_44
.LBB4_43:                               ;   in Loop: Header=BB4_29 Depth=1
	global_load_dwordx2 v[10:11], v26, s[4:5]
	s_add_i32 s21, s20, -8
	s_add_u32 s4, s4, 8
	s_addc_u32 s5, s5, 0
.LBB4_44:                               ;   in Loop: Header=BB4_29 Depth=1
	s_cmp_gt_u32 s21, 7
	s_cbranch_scc1 .LBB4_48
; %bb.45:                               ;   in Loop: Header=BB4_29 Depth=1
	s_cmp_eq_u32 s21, 0
	s_cbranch_scc1 .LBB4_49
; %bb.46:                               ;   in Loop: Header=BB4_29 Depth=1
	v_mov_b32_e32 v12, 0
	s_mov_b64 s[16:17], 0
	v_mov_b32_e32 v13, 0
	s_mov_b64 s[18:19], 0
.LBB4_47:                               ;   Parent Loop BB4_29 Depth=1
                                        ; =>  This Inner Loop Header: Depth=2
	s_add_u32 s22, s4, s18
	s_addc_u32 s23, s5, s19
	global_load_ubyte v2, v26, s[22:23]
	s_add_u32 s18, s18, 1
	s_addc_u32 s19, s19, 0
	s_waitcnt vmcnt(0)
	v_and_b32_e32 v25, 0xffff, v2
	v_lshlrev_b64 v[2:3], s16, v[25:26]
	s_add_u32 s16, s16, 8
	s_addc_u32 s17, s17, 0
	v_or_b32_e32 v12, v2, v12
	s_cmp_lg_u32 s21, s18
	v_or_b32_e32 v13, v3, v13
	s_cbranch_scc1 .LBB4_47
	s_branch .LBB4_50
.LBB4_48:                               ;   in Loop: Header=BB4_29 Depth=1
                                        ; implicit-def: $sgpr20
	s_branch .LBB4_51
.LBB4_49:                               ;   in Loop: Header=BB4_29 Depth=1
	v_mov_b32_e32 v12, 0
	v_mov_b32_e32 v13, 0
.LBB4_50:                               ;   in Loop: Header=BB4_29 Depth=1
	s_mov_b32 s20, 0
	s_cbranch_execnz .LBB4_52
.LBB4_51:                               ;   in Loop: Header=BB4_29 Depth=1
	global_load_dwordx2 v[12:13], v26, s[4:5]
	s_add_i32 s20, s21, -8
	s_add_u32 s4, s4, 8
	s_addc_u32 s5, s5, 0
.LBB4_52:                               ;   in Loop: Header=BB4_29 Depth=1
	s_cmp_gt_u32 s20, 7
	s_cbranch_scc1 .LBB4_56
; %bb.53:                               ;   in Loop: Header=BB4_29 Depth=1
	s_cmp_eq_u32 s20, 0
	s_cbranch_scc1 .LBB4_57
; %bb.54:                               ;   in Loop: Header=BB4_29 Depth=1
	v_mov_b32_e32 v14, 0
	s_mov_b64 s[16:17], 0
	v_mov_b32_e32 v15, 0
	s_mov_b64 s[18:19], 0
.LBB4_55:                               ;   Parent Loop BB4_29 Depth=1
                                        ; =>  This Inner Loop Header: Depth=2
	s_add_u32 s22, s4, s18
	s_addc_u32 s23, s5, s19
	global_load_ubyte v2, v26, s[22:23]
	s_add_u32 s18, s18, 1
	s_addc_u32 s19, s19, 0
	s_waitcnt vmcnt(0)
	v_and_b32_e32 v25, 0xffff, v2
	v_lshlrev_b64 v[2:3], s16, v[25:26]
	s_add_u32 s16, s16, 8
	s_addc_u32 s17, s17, 0
	v_or_b32_e32 v14, v2, v14
	s_cmp_lg_u32 s20, s18
	v_or_b32_e32 v15, v3, v15
	s_cbranch_scc1 .LBB4_55
	s_branch .LBB4_58
.LBB4_56:                               ;   in Loop: Header=BB4_29 Depth=1
                                        ; implicit-def: $vgpr14_vgpr15
                                        ; implicit-def: $sgpr21
	s_branch .LBB4_59
.LBB4_57:                               ;   in Loop: Header=BB4_29 Depth=1
	v_mov_b32_e32 v14, 0
	v_mov_b32_e32 v15, 0
.LBB4_58:                               ;   in Loop: Header=BB4_29 Depth=1
	s_mov_b32 s21, 0
	s_cbranch_execnz .LBB4_60
.LBB4_59:                               ;   in Loop: Header=BB4_29 Depth=1
	global_load_dwordx2 v[14:15], v26, s[4:5]
	s_add_i32 s21, s20, -8
	s_add_u32 s4, s4, 8
	s_addc_u32 s5, s5, 0
.LBB4_60:                               ;   in Loop: Header=BB4_29 Depth=1
	s_cmp_gt_u32 s21, 7
	s_cbranch_scc1 .LBB4_64
; %bb.61:                               ;   in Loop: Header=BB4_29 Depth=1
	s_cmp_eq_u32 s21, 0
	s_cbranch_scc1 .LBB4_65
; %bb.62:                               ;   in Loop: Header=BB4_29 Depth=1
	v_mov_b32_e32 v16, 0
	s_mov_b64 s[16:17], 0
	v_mov_b32_e32 v17, 0
	s_mov_b64 s[18:19], 0
.LBB4_63:                               ;   Parent Loop BB4_29 Depth=1
                                        ; =>  This Inner Loop Header: Depth=2
	s_add_u32 s22, s4, s18
	s_addc_u32 s23, s5, s19
	global_load_ubyte v2, v26, s[22:23]
	s_add_u32 s18, s18, 1
	s_addc_u32 s19, s19, 0
	s_waitcnt vmcnt(0)
	v_and_b32_e32 v25, 0xffff, v2
	v_lshlrev_b64 v[2:3], s16, v[25:26]
	s_add_u32 s16, s16, 8
	s_addc_u32 s17, s17, 0
	v_or_b32_e32 v16, v2, v16
	s_cmp_lg_u32 s21, s18
	v_or_b32_e32 v17, v3, v17
	s_cbranch_scc1 .LBB4_63
	s_branch .LBB4_66
.LBB4_64:                               ;   in Loop: Header=BB4_29 Depth=1
                                        ; implicit-def: $sgpr20
	s_branch .LBB4_67
.LBB4_65:                               ;   in Loop: Header=BB4_29 Depth=1
	v_mov_b32_e32 v16, 0
	v_mov_b32_e32 v17, 0
.LBB4_66:                               ;   in Loop: Header=BB4_29 Depth=1
	s_mov_b32 s20, 0
	s_cbranch_execnz .LBB4_68
.LBB4_67:                               ;   in Loop: Header=BB4_29 Depth=1
	global_load_dwordx2 v[16:17], v26, s[4:5]
	s_add_i32 s20, s21, -8
	s_add_u32 s4, s4, 8
	s_addc_u32 s5, s5, 0
.LBB4_68:                               ;   in Loop: Header=BB4_29 Depth=1
	s_cmp_gt_u32 s20, 7
	s_cbranch_scc1 .LBB4_72
; %bb.69:                               ;   in Loop: Header=BB4_29 Depth=1
	s_cmp_eq_u32 s20, 0
	s_cbranch_scc1 .LBB4_73
; %bb.70:                               ;   in Loop: Header=BB4_29 Depth=1
	v_mov_b32_e32 v18, 0
	s_mov_b64 s[16:17], 0
	v_mov_b32_e32 v19, 0
	s_mov_b64 s[18:19], 0
.LBB4_71:                               ;   Parent Loop BB4_29 Depth=1
                                        ; =>  This Inner Loop Header: Depth=2
	s_add_u32 s22, s4, s18
	s_addc_u32 s23, s5, s19
	global_load_ubyte v2, v26, s[22:23]
	s_add_u32 s18, s18, 1
	s_addc_u32 s19, s19, 0
	s_waitcnt vmcnt(0)
	v_and_b32_e32 v25, 0xffff, v2
	v_lshlrev_b64 v[2:3], s16, v[25:26]
	s_add_u32 s16, s16, 8
	s_addc_u32 s17, s17, 0
	v_or_b32_e32 v18, v2, v18
	s_cmp_lg_u32 s20, s18
	v_or_b32_e32 v19, v3, v19
	s_cbranch_scc1 .LBB4_71
	s_branch .LBB4_74
.LBB4_72:                               ;   in Loop: Header=BB4_29 Depth=1
                                        ; implicit-def: $vgpr18_vgpr19
                                        ; implicit-def: $sgpr21
	s_branch .LBB4_75
.LBB4_73:                               ;   in Loop: Header=BB4_29 Depth=1
	v_mov_b32_e32 v18, 0
	v_mov_b32_e32 v19, 0
.LBB4_74:                               ;   in Loop: Header=BB4_29 Depth=1
	s_mov_b32 s21, 0
	s_cbranch_execnz .LBB4_76
.LBB4_75:                               ;   in Loop: Header=BB4_29 Depth=1
	global_load_dwordx2 v[18:19], v26, s[4:5]
	s_add_i32 s21, s20, -8
	s_add_u32 s4, s4, 8
	s_addc_u32 s5, s5, 0
.LBB4_76:                               ;   in Loop: Header=BB4_29 Depth=1
	s_cmp_gt_u32 s21, 7
	s_cbranch_scc1 .LBB4_80
; %bb.77:                               ;   in Loop: Header=BB4_29 Depth=1
	s_cmp_eq_u32 s21, 0
	s_cbranch_scc1 .LBB4_81
; %bb.78:                               ;   in Loop: Header=BB4_29 Depth=1
	v_mov_b32_e32 v20, 0
	s_mov_b64 s[16:17], 0
	v_mov_b32_e32 v21, 0
	s_mov_b64 s[18:19], s[4:5]
.LBB4_79:                               ;   Parent Loop BB4_29 Depth=1
                                        ; =>  This Inner Loop Header: Depth=2
	global_load_ubyte v2, v26, s[18:19]
	s_add_i32 s21, s21, -1
	s_waitcnt vmcnt(0)
	v_and_b32_e32 v25, 0xffff, v2
	v_lshlrev_b64 v[2:3], s16, v[25:26]
	s_add_u32 s16, s16, 8
	s_addc_u32 s17, s17, 0
	s_add_u32 s18, s18, 1
	s_addc_u32 s19, s19, 0
	v_or_b32_e32 v20, v2, v20
	s_cmp_lg_u32 s21, 0
	v_or_b32_e32 v21, v3, v21
	s_cbranch_scc1 .LBB4_79
	s_branch .LBB4_82
.LBB4_80:                               ;   in Loop: Header=BB4_29 Depth=1
	s_branch .LBB4_83
.LBB4_81:                               ;   in Loop: Header=BB4_29 Depth=1
	v_mov_b32_e32 v20, 0
	v_mov_b32_e32 v21, 0
.LBB4_82:                               ;   in Loop: Header=BB4_29 Depth=1
	s_cbranch_execnz .LBB4_84
.LBB4_83:                               ;   in Loop: Header=BB4_29 Depth=1
	global_load_dwordx2 v[20:21], v26, s[4:5]
.LBB4_84:                               ;   in Loop: Header=BB4_29 Depth=1
	v_readfirstlane_b32 s4, v29
	v_mov_b32_e32 v2, 0
	v_mov_b32_e32 v3, 0
	v_cmp_eq_u32_e64 s[4:5], s4, v29
	s_and_saveexec_b64 s[16:17], s[4:5]
	s_cbranch_execz .LBB4_90
; %bb.85:                               ;   in Loop: Header=BB4_29 Depth=1
	global_load_dwordx2 v[24:25], v26, s[6:7] offset:24 glc
	s_waitcnt vmcnt(0)
	buffer_wbinvl1_vol
	global_load_dwordx2 v[2:3], v26, s[6:7] offset:40
	global_load_dwordx2 v[22:23], v26, s[6:7]
	s_waitcnt vmcnt(1)
	v_and_b32_e32 v2, v2, v24
	v_and_b32_e32 v3, v3, v25
	v_mul_lo_u32 v3, v3, 24
	v_mul_hi_u32 v27, v2, 24
	v_mul_lo_u32 v2, v2, 24
	v_add_u32_e32 v3, v27, v3
	s_waitcnt vmcnt(0)
	v_add_co_u32_e32 v2, vcc, v22, v2
	v_addc_co_u32_e32 v3, vcc, v23, v3, vcc
	global_load_dwordx2 v[22:23], v[2:3], off glc
	s_waitcnt vmcnt(0)
	global_atomic_cmpswap_x2 v[2:3], v26, v[22:25], s[6:7] offset:24 glc
	s_waitcnt vmcnt(0)
	buffer_wbinvl1_vol
	v_cmp_ne_u64_e32 vcc, v[2:3], v[24:25]
	s_and_saveexec_b64 s[18:19], vcc
	s_cbranch_execz .LBB4_89
; %bb.86:                               ;   in Loop: Header=BB4_29 Depth=1
	s_mov_b64 s[20:21], 0
.LBB4_87:                               ;   Parent Loop BB4_29 Depth=1
                                        ; =>  This Inner Loop Header: Depth=2
	s_sleep 1
	global_load_dwordx2 v[22:23], v26, s[6:7] offset:40
	global_load_dwordx2 v[27:28], v26, s[6:7]
	v_mov_b32_e32 v25, v3
	v_mov_b32_e32 v24, v2
	s_waitcnt vmcnt(1)
	v_and_b32_e32 v2, v22, v24
	s_waitcnt vmcnt(0)
	v_mad_u64_u32 v[2:3], s[22:23], v2, 24, v[27:28]
	v_and_b32_e32 v22, v23, v25
	v_mad_u64_u32 v[22:23], s[22:23], v22, 24, v[3:4]
	v_mov_b32_e32 v3, v22
	global_load_dwordx2 v[22:23], v[2:3], off glc
	s_waitcnt vmcnt(0)
	global_atomic_cmpswap_x2 v[2:3], v26, v[22:25], s[6:7] offset:24 glc
	s_waitcnt vmcnt(0)
	buffer_wbinvl1_vol
	v_cmp_eq_u64_e32 vcc, v[2:3], v[24:25]
	s_or_b64 s[20:21], vcc, s[20:21]
	s_andn2_b64 exec, exec, s[20:21]
	s_cbranch_execnz .LBB4_87
; %bb.88:                               ;   in Loop: Header=BB4_29 Depth=1
	s_or_b64 exec, exec, s[20:21]
.LBB4_89:                               ;   in Loop: Header=BB4_29 Depth=1
	s_or_b64 exec, exec, s[18:19]
.LBB4_90:                               ;   in Loop: Header=BB4_29 Depth=1
	s_or_b64 exec, exec, s[16:17]
	global_load_dwordx2 v[27:28], v26, s[6:7] offset:40
	global_load_dwordx4 v[22:25], v26, s[6:7]
	v_readfirstlane_b32 s16, v2
	v_readfirstlane_b32 s17, v3
	s_mov_b64 s[18:19], exec
	s_waitcnt vmcnt(1)
	v_readfirstlane_b32 s20, v27
	v_readfirstlane_b32 s21, v28
	s_and_b64 s[20:21], s[16:17], s[20:21]
	s_mul_i32 s22, s21, 24
	s_mul_hi_u32 s23, s20, 24
	s_mul_i32 s24, s20, 24
	s_add_i32 s22, s23, s22
	v_mov_b32_e32 v2, s22
	s_waitcnt vmcnt(0)
	v_add_co_u32_e32 v27, vcc, s24, v22
	v_addc_co_u32_e32 v28, vcc, v23, v2, vcc
	s_and_saveexec_b64 s[22:23], s[4:5]
	s_cbranch_execz .LBB4_92
; %bb.91:                               ;   in Loop: Header=BB4_29 Depth=1
	v_mov_b32_e32 v2, s18
	v_mov_b32_e32 v3, s19
	global_store_dwordx4 v[27:28], v[2:5], off offset:8
.LBB4_92:                               ;   in Loop: Header=BB4_29 Depth=1
	s_or_b64 exec, exec, s[22:23]
	s_lshl_b64 s[18:19], s[20:21], 12
	v_mov_b32_e32 v2, s19
	v_add_co_u32_e32 v24, vcc, s18, v24
	v_addc_co_u32_e32 v31, vcc, v25, v2, vcc
	v_cmp_gt_u64_e64 vcc, s[12:13], 56
	v_or_b32_e32 v2, 2, v6
	s_lshl_b32 s18, s14, 2
	v_cndmask_b32_e32 v2, v2, v6, vcc
	s_add_i32 s18, s18, 28
	s_and_b32 s18, s18, 0x1e0
	v_and_b32_e32 v2, 0xffffff1f, v2
	v_or_b32_e32 v6, s18, v2
	v_readfirstlane_b32 s18, v24
	v_readfirstlane_b32 s19, v31
	s_nop 4
	global_store_dwordx4 v30, v[6:9], s[18:19]
	global_store_dwordx4 v30, v[10:13], s[18:19] offset:16
	global_store_dwordx4 v30, v[14:17], s[18:19] offset:32
	;; [unrolled: 1-line block ×3, first 2 shown]
	s_and_saveexec_b64 s[18:19], s[4:5]
	s_cbranch_execz .LBB4_100
; %bb.93:                               ;   in Loop: Header=BB4_29 Depth=1
	global_load_dwordx2 v[10:11], v26, s[6:7] offset:32 glc
	global_load_dwordx2 v[2:3], v26, s[6:7] offset:40
	v_mov_b32_e32 v8, s16
	v_mov_b32_e32 v9, s17
	s_waitcnt vmcnt(0)
	v_readfirstlane_b32 s20, v2
	v_readfirstlane_b32 s21, v3
	s_and_b64 s[20:21], s[20:21], s[16:17]
	s_mul_i32 s21, s21, 24
	s_mul_hi_u32 s22, s20, 24
	s_mul_i32 s20, s20, 24
	s_add_i32 s21, s22, s21
	v_mov_b32_e32 v3, s21
	v_add_co_u32_e32 v2, vcc, s20, v22
	v_addc_co_u32_e32 v3, vcc, v23, v3, vcc
	global_store_dwordx2 v[2:3], v[10:11], off
	s_waitcnt vmcnt(0)
	global_atomic_cmpswap_x2 v[8:9], v26, v[8:11], s[6:7] offset:32 glc
	s_waitcnt vmcnt(0)
	v_cmp_ne_u64_e32 vcc, v[8:9], v[10:11]
	s_and_saveexec_b64 s[20:21], vcc
	s_cbranch_execz .LBB4_96
; %bb.94:                               ;   in Loop: Header=BB4_29 Depth=1
	s_mov_b64 s[22:23], 0
.LBB4_95:                               ;   Parent Loop BB4_29 Depth=1
                                        ; =>  This Inner Loop Header: Depth=2
	s_sleep 1
	global_store_dwordx2 v[2:3], v[8:9], off
	v_mov_b32_e32 v6, s16
	v_mov_b32_e32 v7, s17
	s_waitcnt vmcnt(0)
	global_atomic_cmpswap_x2 v[6:7], v26, v[6:9], s[6:7] offset:32 glc
	s_waitcnt vmcnt(0)
	v_cmp_eq_u64_e32 vcc, v[6:7], v[8:9]
	v_mov_b32_e32 v9, v7
	s_or_b64 s[22:23], vcc, s[22:23]
	v_mov_b32_e32 v8, v6
	s_andn2_b64 exec, exec, s[22:23]
	s_cbranch_execnz .LBB4_95
.LBB4_96:                               ;   in Loop: Header=BB4_29 Depth=1
	s_or_b64 exec, exec, s[20:21]
	global_load_dwordx2 v[2:3], v26, s[6:7] offset:16
	s_mov_b64 s[22:23], exec
	v_mbcnt_lo_u32_b32 v6, s22, 0
	v_mbcnt_hi_u32_b32 v6, s23, v6
	v_cmp_eq_u32_e32 vcc, 0, v6
	s_and_saveexec_b64 s[20:21], vcc
	s_cbranch_execz .LBB4_98
; %bb.97:                               ;   in Loop: Header=BB4_29 Depth=1
	s_bcnt1_i32_b64 s22, s[22:23]
	v_mov_b32_e32 v25, s22
	s_waitcnt vmcnt(0)
	global_atomic_add_x2 v[2:3], v[25:26], off offset:8
.LBB4_98:                               ;   in Loop: Header=BB4_29 Depth=1
	s_or_b64 exec, exec, s[20:21]
	s_waitcnt vmcnt(0)
	global_load_dwordx2 v[6:7], v[2:3], off offset:16
	s_waitcnt vmcnt(0)
	v_cmp_eq_u64_e32 vcc, 0, v[6:7]
	s_cbranch_vccnz .LBB4_100
; %bb.99:                               ;   in Loop: Header=BB4_29 Depth=1
	global_load_dword v25, v[2:3], off offset:24
	s_waitcnt vmcnt(0)
	v_and_b32_e32 v2, 0xffffff, v25
	v_readfirstlane_b32 m0, v2
	global_store_dwordx2 v[6:7], v[25:26], off
	s_sendmsg sendmsg(MSG_INTERRUPT)
.LBB4_100:                              ;   in Loop: Header=BB4_29 Depth=1
	s_or_b64 exec, exec, s[18:19]
	v_add_co_u32_e32 v2, vcc, v24, v30
	v_addc_co_u32_e32 v3, vcc, 0, v31, vcc
	s_branch .LBB4_104
.LBB4_101:                              ;   in Loop: Header=BB4_104 Depth=2
	s_or_b64 exec, exec, s[18:19]
	v_readfirstlane_b32 s18, v6
	s_cmp_eq_u32 s18, 0
	s_cbranch_scc1 .LBB4_103
; %bb.102:                              ;   in Loop: Header=BB4_104 Depth=2
	s_sleep 1
	s_cbranch_execnz .LBB4_104
	s_branch .LBB4_106
.LBB4_103:                              ;   in Loop: Header=BB4_29 Depth=1
	s_branch .LBB4_106
.LBB4_104:                              ;   Parent Loop BB4_29 Depth=1
                                        ; =>  This Inner Loop Header: Depth=2
	v_mov_b32_e32 v6, 1
	s_and_saveexec_b64 s[18:19], s[4:5]
	s_cbranch_execz .LBB4_101
; %bb.105:                              ;   in Loop: Header=BB4_104 Depth=2
	global_load_dword v6, v[27:28], off offset:20 glc
	s_waitcnt vmcnt(0)
	buffer_wbinvl1_vol
	v_and_b32_e32 v6, 1, v6
	s_branch .LBB4_101
.LBB4_106:                              ;   in Loop: Header=BB4_29 Depth=1
	global_load_dwordx4 v[6:9], v[2:3], off
	s_and_saveexec_b64 s[18:19], s[4:5]
	s_cbranch_execz .LBB4_28
; %bb.107:                              ;   in Loop: Header=BB4_29 Depth=1
	global_load_dwordx2 v[2:3], v26, s[6:7] offset:40
	global_load_dwordx2 v[12:13], v26, s[6:7] offset:24 glc
	global_load_dwordx2 v[14:15], v26, s[6:7]
	s_waitcnt vmcnt(3)
	v_mov_b32_e32 v9, s17
	s_waitcnt vmcnt(2)
	v_add_co_u32_e32 v10, vcc, 1, v2
	v_addc_co_u32_e32 v11, vcc, 0, v3, vcc
	v_add_co_u32_e32 v8, vcc, s16, v10
	v_addc_co_u32_e32 v9, vcc, v11, v9, vcc
	v_cmp_eq_u64_e32 vcc, 0, v[8:9]
	v_cndmask_b32_e32 v9, v9, v11, vcc
	v_cndmask_b32_e32 v8, v8, v10, vcc
	v_and_b32_e32 v3, v9, v3
	v_and_b32_e32 v2, v8, v2
	v_mul_lo_u32 v3, v3, 24
	v_mul_hi_u32 v11, v2, 24
	v_mul_lo_u32 v2, v2, 24
	s_waitcnt vmcnt(1)
	v_mov_b32_e32 v10, v12
	v_add_u32_e32 v3, v11, v3
	s_waitcnt vmcnt(0)
	v_add_co_u32_e32 v2, vcc, v14, v2
	v_addc_co_u32_e32 v3, vcc, v15, v3, vcc
	global_store_dwordx2 v[2:3], v[12:13], off
	v_mov_b32_e32 v11, v13
	s_waitcnt vmcnt(0)
	global_atomic_cmpswap_x2 v[10:11], v26, v[8:11], s[6:7] offset:24 glc
	s_waitcnt vmcnt(0)
	v_cmp_ne_u64_e32 vcc, v[10:11], v[12:13]
	s_and_b64 exec, exec, vcc
	s_cbranch_execz .LBB4_28
; %bb.108:                              ;   in Loop: Header=BB4_29 Depth=1
	s_mov_b64 s[4:5], 0
.LBB4_109:                              ;   Parent Loop BB4_29 Depth=1
                                        ; =>  This Inner Loop Header: Depth=2
	s_sleep 1
	global_store_dwordx2 v[2:3], v[10:11], off
	s_waitcnt vmcnt(0)
	global_atomic_cmpswap_x2 v[12:13], v26, v[8:11], s[6:7] offset:24 glc
	s_waitcnt vmcnt(0)
	v_cmp_eq_u64_e32 vcc, v[12:13], v[10:11]
	v_mov_b32_e32 v10, v12
	s_or_b64 s[4:5], vcc, s[4:5]
	v_mov_b32_e32 v11, v13
	s_andn2_b64 exec, exec, s[4:5]
	s_cbranch_execnz .LBB4_109
	s_branch .LBB4_28
.LBB4_110:
.LBB4_111:
	s_andn2_saveexec_b64 s[8:9], s[8:9]
	s_cbranch_execz .LBB4_222
.LBB4_112:
	v_readfirstlane_b32 s4, v29
	s_waitcnt vmcnt(0)
	v_mov_b32_e32 v5, 0
	v_mov_b32_e32 v6, 0
	v_cmp_eq_u32_e64 s[4:5], s4, v29
	s_and_saveexec_b64 s[10:11], s[4:5]
	s_cbranch_execz .LBB4_118
; %bb.113:
	v_mov_b32_e32 v0, 0
	s_waitcnt lgkmcnt(0)
	global_load_dwordx2 v[3:4], v0, s[6:7] offset:24 glc
	s_waitcnt vmcnt(0)
	buffer_wbinvl1_vol
	global_load_dwordx2 v[1:2], v0, s[6:7] offset:40
	global_load_dwordx2 v[5:6], v0, s[6:7]
	s_waitcnt vmcnt(1)
	v_and_b32_e32 v1, v1, v3
	v_and_b32_e32 v2, v2, v4
	v_mul_lo_u32 v2, v2, 24
	v_mul_hi_u32 v7, v1, 24
	v_mul_lo_u32 v1, v1, 24
	v_add_u32_e32 v2, v7, v2
	s_waitcnt vmcnt(0)
	v_add_co_u32_e32 v1, vcc, v5, v1
	v_addc_co_u32_e32 v2, vcc, v6, v2, vcc
	global_load_dwordx2 v[1:2], v[1:2], off glc
	s_waitcnt vmcnt(0)
	global_atomic_cmpswap_x2 v[5:6], v0, v[1:4], s[6:7] offset:24 glc
	s_waitcnt vmcnt(0)
	buffer_wbinvl1_vol
	v_cmp_ne_u64_e32 vcc, v[5:6], v[3:4]
	s_and_saveexec_b64 s[12:13], vcc
	s_cbranch_execz .LBB4_117
; %bb.114:
	s_mov_b64 s[14:15], 0
.LBB4_115:                              ; =>This Inner Loop Header: Depth=1
	s_sleep 1
	global_load_dwordx2 v[1:2], v0, s[6:7] offset:40
	global_load_dwordx2 v[7:8], v0, s[6:7]
	v_mov_b32_e32 v3, v5
	v_mov_b32_e32 v4, v6
	s_waitcnt vmcnt(1)
	v_and_b32_e32 v1, v1, v3
	s_waitcnt vmcnt(0)
	v_mad_u64_u32 v[5:6], s[16:17], v1, 24, v[7:8]
	v_and_b32_e32 v2, v2, v4
	v_mov_b32_e32 v1, v6
	v_mad_u64_u32 v[1:2], s[16:17], v2, 24, v[1:2]
	v_mov_b32_e32 v6, v1
	global_load_dwordx2 v[1:2], v[5:6], off glc
	s_waitcnt vmcnt(0)
	global_atomic_cmpswap_x2 v[5:6], v0, v[1:4], s[6:7] offset:24 glc
	s_waitcnt vmcnt(0)
	buffer_wbinvl1_vol
	v_cmp_eq_u64_e32 vcc, v[5:6], v[3:4]
	s_or_b64 s[14:15], vcc, s[14:15]
	s_andn2_b64 exec, exec, s[14:15]
	s_cbranch_execnz .LBB4_115
; %bb.116:
	s_or_b64 exec, exec, s[14:15]
.LBB4_117:
	s_or_b64 exec, exec, s[12:13]
.LBB4_118:
	s_or_b64 exec, exec, s[10:11]
	v_mov_b32_e32 v4, 0
	s_waitcnt lgkmcnt(0)
	global_load_dwordx2 v[7:8], v4, s[6:7] offset:40
	global_load_dwordx4 v[0:3], v4, s[6:7]
	v_readfirstlane_b32 s10, v5
	v_readfirstlane_b32 s11, v6
	s_mov_b64 s[12:13], exec
	s_waitcnt vmcnt(1)
	v_readfirstlane_b32 s14, v7
	v_readfirstlane_b32 s15, v8
	s_and_b64 s[14:15], s[10:11], s[14:15]
	s_mul_i32 s16, s15, 24
	s_mul_hi_u32 s17, s14, 24
	s_mul_i32 s18, s14, 24
	s_add_i32 s16, s17, s16
	v_mov_b32_e32 v5, s16
	s_waitcnt vmcnt(0)
	v_add_co_u32_e32 v7, vcc, s18, v0
	v_addc_co_u32_e32 v8, vcc, v1, v5, vcc
	s_and_saveexec_b64 s[16:17], s[4:5]
	s_cbranch_execz .LBB4_120
; %bb.119:
	v_mov_b32_e32 v9, s12
	v_mov_b32_e32 v10, s13
	v_mov_b32_e32 v11, 2
	v_mov_b32_e32 v12, 1
	global_store_dwordx4 v[7:8], v[9:12], off offset:8
.LBB4_120:
	s_or_b64 exec, exec, s[16:17]
	s_lshl_b64 s[12:13], s[14:15], 12
	v_mov_b32_e32 v5, s13
	v_add_co_u32_e32 v2, vcc, s12, v2
	v_addc_co_u32_e32 v11, vcc, v3, v5, vcc
	s_mov_b32 s12, 0
	v_lshlrev_b32_e32 v30, 6, v29
	v_mov_b32_e32 v3, 33
	v_mov_b32_e32 v5, v4
	;; [unrolled: 1-line block ×3, first 2 shown]
	v_readfirstlane_b32 s16, v2
	v_readfirstlane_b32 s17, v11
	v_add_co_u32_e32 v9, vcc, v2, v30
	s_mov_b32 s13, s12
	s_mov_b32 s14, s12
	;; [unrolled: 1-line block ×3, first 2 shown]
	s_nop 0
	global_store_dwordx4 v30, v[3:6], s[16:17]
	v_mov_b32_e32 v2, s12
	v_addc_co_u32_e32 v10, vcc, 0, v11, vcc
	v_mov_b32_e32 v3, s13
	v_mov_b32_e32 v4, s14
	;; [unrolled: 1-line block ×3, first 2 shown]
	global_store_dwordx4 v30, v[2:5], s[16:17] offset:16
	global_store_dwordx4 v30, v[2:5], s[16:17] offset:32
	;; [unrolled: 1-line block ×3, first 2 shown]
	s_and_saveexec_b64 s[12:13], s[4:5]
	s_cbranch_execz .LBB4_128
; %bb.121:
	v_mov_b32_e32 v6, 0
	global_load_dwordx2 v[13:14], v6, s[6:7] offset:32 glc
	global_load_dwordx2 v[2:3], v6, s[6:7] offset:40
	v_mov_b32_e32 v11, s10
	v_mov_b32_e32 v12, s11
	s_waitcnt vmcnt(0)
	v_and_b32_e32 v2, s10, v2
	v_and_b32_e32 v3, s11, v3
	v_mul_lo_u32 v3, v3, 24
	v_mul_hi_u32 v4, v2, 24
	v_mul_lo_u32 v2, v2, 24
	v_add_u32_e32 v3, v4, v3
	v_add_co_u32_e32 v4, vcc, v0, v2
	v_addc_co_u32_e32 v5, vcc, v1, v3, vcc
	global_store_dwordx2 v[4:5], v[13:14], off
	s_waitcnt vmcnt(0)
	global_atomic_cmpswap_x2 v[2:3], v6, v[11:14], s[6:7] offset:32 glc
	s_waitcnt vmcnt(0)
	v_cmp_ne_u64_e32 vcc, v[2:3], v[13:14]
	s_and_saveexec_b64 s[14:15], vcc
	s_cbranch_execz .LBB4_124
; %bb.122:
	s_mov_b64 s[16:17], 0
.LBB4_123:                              ; =>This Inner Loop Header: Depth=1
	s_sleep 1
	global_store_dwordx2 v[4:5], v[2:3], off
	v_mov_b32_e32 v0, s10
	v_mov_b32_e32 v1, s11
	s_waitcnt vmcnt(0)
	global_atomic_cmpswap_x2 v[0:1], v6, v[0:3], s[6:7] offset:32 glc
	s_waitcnt vmcnt(0)
	v_cmp_eq_u64_e32 vcc, v[0:1], v[2:3]
	v_mov_b32_e32 v3, v1
	s_or_b64 s[16:17], vcc, s[16:17]
	v_mov_b32_e32 v2, v0
	s_andn2_b64 exec, exec, s[16:17]
	s_cbranch_execnz .LBB4_123
.LBB4_124:
	s_or_b64 exec, exec, s[14:15]
	v_mov_b32_e32 v3, 0
	global_load_dwordx2 v[0:1], v3, s[6:7] offset:16
	s_mov_b64 s[14:15], exec
	v_mbcnt_lo_u32_b32 v2, s14, 0
	v_mbcnt_hi_u32_b32 v2, s15, v2
	v_cmp_eq_u32_e32 vcc, 0, v2
	s_and_saveexec_b64 s[16:17], vcc
	s_cbranch_execz .LBB4_126
; %bb.125:
	s_bcnt1_i32_b64 s14, s[14:15]
	v_mov_b32_e32 v2, s14
	s_waitcnt vmcnt(0)
	global_atomic_add_x2 v[0:1], v[2:3], off offset:8
.LBB4_126:
	s_or_b64 exec, exec, s[16:17]
	s_waitcnt vmcnt(0)
	global_load_dwordx2 v[2:3], v[0:1], off offset:16
	s_waitcnt vmcnt(0)
	v_cmp_eq_u64_e32 vcc, 0, v[2:3]
	s_cbranch_vccnz .LBB4_128
; %bb.127:
	global_load_dword v0, v[0:1], off offset:24
	v_mov_b32_e32 v1, 0
	s_waitcnt vmcnt(0)
	global_store_dwordx2 v[2:3], v[0:1], off
	v_and_b32_e32 v0, 0xffffff, v0
	v_readfirstlane_b32 m0, v0
	s_sendmsg sendmsg(MSG_INTERRUPT)
.LBB4_128:
	s_or_b64 exec, exec, s[12:13]
	s_branch .LBB4_132
.LBB4_129:                              ;   in Loop: Header=BB4_132 Depth=1
	s_or_b64 exec, exec, s[12:13]
	v_readfirstlane_b32 s12, v0
	s_cmp_eq_u32 s12, 0
	s_cbranch_scc1 .LBB4_131
; %bb.130:                              ;   in Loop: Header=BB4_132 Depth=1
	s_sleep 1
	s_cbranch_execnz .LBB4_132
	s_branch .LBB4_134
.LBB4_131:
	s_branch .LBB4_134
.LBB4_132:                              ; =>This Inner Loop Header: Depth=1
	v_mov_b32_e32 v0, 1
	s_and_saveexec_b64 s[12:13], s[4:5]
	s_cbranch_execz .LBB4_129
; %bb.133:                              ;   in Loop: Header=BB4_132 Depth=1
	global_load_dword v0, v[7:8], off offset:20 glc
	s_waitcnt vmcnt(0)
	buffer_wbinvl1_vol
	v_and_b32_e32 v0, 1, v0
	s_branch .LBB4_129
.LBB4_134:
	global_load_dwordx2 v[0:1], v[9:10], off
	s_and_saveexec_b64 s[12:13], s[4:5]
	s_cbranch_execz .LBB4_137
; %bb.135:
	v_mov_b32_e32 v8, 0
	global_load_dwordx2 v[4:5], v8, s[6:7] offset:40
	global_load_dwordx2 v[9:10], v8, s[6:7] offset:24 glc
	global_load_dwordx2 v[6:7], v8, s[6:7]
	v_mov_b32_e32 v3, s11
	s_mov_b64 s[4:5], 0
	s_waitcnt vmcnt(2)
	v_add_co_u32_e32 v11, vcc, 1, v4
	v_addc_co_u32_e32 v12, vcc, 0, v5, vcc
	v_add_co_u32_e32 v2, vcc, s10, v11
	v_addc_co_u32_e32 v3, vcc, v12, v3, vcc
	v_cmp_eq_u64_e32 vcc, 0, v[2:3]
	v_cndmask_b32_e32 v3, v3, v12, vcc
	v_cndmask_b32_e32 v2, v2, v11, vcc
	v_and_b32_e32 v5, v3, v5
	v_and_b32_e32 v4, v2, v4
	v_mul_lo_u32 v5, v5, 24
	v_mul_hi_u32 v11, v4, 24
	v_mul_lo_u32 v12, v4, 24
	s_waitcnt vmcnt(1)
	v_mov_b32_e32 v4, v9
	v_add_u32_e32 v5, v11, v5
	s_waitcnt vmcnt(0)
	v_add_co_u32_e32 v6, vcc, v6, v12
	v_addc_co_u32_e32 v7, vcc, v7, v5, vcc
	global_store_dwordx2 v[6:7], v[9:10], off
	v_mov_b32_e32 v5, v10
	s_waitcnt vmcnt(0)
	global_atomic_cmpswap_x2 v[4:5], v8, v[2:5], s[6:7] offset:24 glc
	s_waitcnt vmcnt(0)
	v_cmp_ne_u64_e32 vcc, v[4:5], v[9:10]
	s_and_b64 exec, exec, vcc
	s_cbranch_execz .LBB4_137
.LBB4_136:                              ; =>This Inner Loop Header: Depth=1
	s_sleep 1
	global_store_dwordx2 v[6:7], v[4:5], off
	s_waitcnt vmcnt(0)
	global_atomic_cmpswap_x2 v[9:10], v8, v[2:5], s[6:7] offset:24 glc
	s_waitcnt vmcnt(0)
	v_cmp_eq_u64_e32 vcc, v[9:10], v[4:5]
	v_mov_b32_e32 v4, v9
	s_or_b64 s[4:5], vcc, s[4:5]
	v_mov_b32_e32 v5, v10
	s_andn2_b64 exec, exec, s[4:5]
	s_cbranch_execnz .LBB4_136
.LBB4_137:
	s_or_b64 exec, exec, s[12:13]
	s_getpc_b64 s[10:11]
	s_add_u32 s10, s10, .str.15@rel32@lo+4
	s_addc_u32 s11, s11, .str.15@rel32@hi+12
	s_cmp_lg_u64 s[10:11], 0
	s_cbranch_scc0 .LBB4_250
; %bb.138:
	s_waitcnt vmcnt(0)
	v_and_b32_e32 v6, -3, v0
	v_mov_b32_e32 v7, v1
	s_mov_b64 s[12:13], 6
	v_mov_b32_e32 v26, 0
	v_mov_b32_e32 v4, 2
	;; [unrolled: 1-line block ×3, first 2 shown]
	s_branch .LBB4_140
.LBB4_139:                              ;   in Loop: Header=BB4_140 Depth=1
	s_or_b64 exec, exec, s[18:19]
	s_sub_u32 s12, s12, s14
	s_subb_u32 s13, s13, s15
	s_add_u32 s10, s10, s14
	s_addc_u32 s11, s11, s15
	s_cmp_eq_u64 s[12:13], 0
	s_cbranch_scc1 .LBB4_221
.LBB4_140:                              ; =>This Loop Header: Depth=1
                                        ;     Child Loop BB4_143 Depth 2
                                        ;     Child Loop BB4_150 Depth 2
	;; [unrolled: 1-line block ×11, first 2 shown]
	v_cmp_lt_u64_e64 s[4:5], s[12:13], 56
	v_cmp_gt_u64_e64 s[16:17], s[12:13], 7
	s_and_b64 s[4:5], s[4:5], exec
	s_cselect_b32 s15, s13, 0
	s_cselect_b32 s14, s12, 56
	s_and_b64 vcc, exec, s[16:17]
	s_cbranch_vccnz .LBB4_145
; %bb.141:                              ;   in Loop: Header=BB4_140 Depth=1
	s_waitcnt vmcnt(0)
	v_mov_b32_e32 v8, 0
	s_cmp_eq_u64 s[12:13], 0
	v_mov_b32_e32 v9, 0
	s_mov_b64 s[4:5], 0
	s_cbranch_scc1 .LBB4_144
; %bb.142:                              ;   in Loop: Header=BB4_140 Depth=1
	v_mov_b32_e32 v8, 0
	s_lshl_b64 s[16:17], s[14:15], 3
	s_mov_b64 s[18:19], 0
	v_mov_b32_e32 v9, 0
	s_mov_b64 s[20:21], s[10:11]
.LBB4_143:                              ;   Parent Loop BB4_140 Depth=1
                                        ; =>  This Inner Loop Header: Depth=2
	global_load_ubyte v2, v26, s[20:21]
	s_waitcnt vmcnt(0)
	v_and_b32_e32 v25, 0xffff, v2
	v_lshlrev_b64 v[2:3], s18, v[25:26]
	s_add_u32 s18, s18, 8
	s_addc_u32 s19, s19, 0
	s_add_u32 s20, s20, 1
	s_addc_u32 s21, s21, 0
	v_or_b32_e32 v8, v2, v8
	s_cmp_lg_u32 s16, s18
	v_or_b32_e32 v9, v3, v9
	s_cbranch_scc1 .LBB4_143
.LBB4_144:                              ;   in Loop: Header=BB4_140 Depth=1
	s_mov_b32 s20, 0
	s_andn2_b64 vcc, exec, s[4:5]
	s_mov_b64 s[4:5], s[10:11]
	s_cbranch_vccz .LBB4_146
	s_branch .LBB4_147
.LBB4_145:                              ;   in Loop: Header=BB4_140 Depth=1
                                        ; implicit-def: $sgpr20
	s_mov_b64 s[4:5], s[10:11]
.LBB4_146:                              ;   in Loop: Header=BB4_140 Depth=1
	global_load_dwordx2 v[8:9], v26, s[10:11]
	s_add_i32 s20, s14, -8
	s_add_u32 s4, s10, 8
	s_addc_u32 s5, s11, 0
.LBB4_147:                              ;   in Loop: Header=BB4_140 Depth=1
	s_cmp_gt_u32 s20, 7
	s_cbranch_scc1 .LBB4_151
; %bb.148:                              ;   in Loop: Header=BB4_140 Depth=1
	s_cmp_eq_u32 s20, 0
	s_cbranch_scc1 .LBB4_152
; %bb.149:                              ;   in Loop: Header=BB4_140 Depth=1
	v_mov_b32_e32 v10, 0
	s_mov_b64 s[16:17], 0
	v_mov_b32_e32 v11, 0
	s_mov_b64 s[18:19], 0
.LBB4_150:                              ;   Parent Loop BB4_140 Depth=1
                                        ; =>  This Inner Loop Header: Depth=2
	s_add_u32 s22, s4, s18
	s_addc_u32 s23, s5, s19
	global_load_ubyte v2, v26, s[22:23]
	s_add_u32 s18, s18, 1
	s_addc_u32 s19, s19, 0
	s_waitcnt vmcnt(0)
	v_and_b32_e32 v25, 0xffff, v2
	v_lshlrev_b64 v[2:3], s16, v[25:26]
	s_add_u32 s16, s16, 8
	s_addc_u32 s17, s17, 0
	v_or_b32_e32 v10, v2, v10
	s_cmp_lg_u32 s20, s18
	v_or_b32_e32 v11, v3, v11
	s_cbranch_scc1 .LBB4_150
	s_branch .LBB4_153
.LBB4_151:                              ;   in Loop: Header=BB4_140 Depth=1
                                        ; implicit-def: $vgpr10_vgpr11
                                        ; implicit-def: $sgpr21
	s_branch .LBB4_154
.LBB4_152:                              ;   in Loop: Header=BB4_140 Depth=1
	v_mov_b32_e32 v10, 0
	v_mov_b32_e32 v11, 0
.LBB4_153:                              ;   in Loop: Header=BB4_140 Depth=1
	s_mov_b32 s21, 0
	s_cbranch_execnz .LBB4_155
.LBB4_154:                              ;   in Loop: Header=BB4_140 Depth=1
	global_load_dwordx2 v[10:11], v26, s[4:5]
	s_add_i32 s21, s20, -8
	s_add_u32 s4, s4, 8
	s_addc_u32 s5, s5, 0
.LBB4_155:                              ;   in Loop: Header=BB4_140 Depth=1
	s_cmp_gt_u32 s21, 7
	s_cbranch_scc1 .LBB4_159
; %bb.156:                              ;   in Loop: Header=BB4_140 Depth=1
	s_cmp_eq_u32 s21, 0
	s_cbranch_scc1 .LBB4_160
; %bb.157:                              ;   in Loop: Header=BB4_140 Depth=1
	v_mov_b32_e32 v12, 0
	s_mov_b64 s[16:17], 0
	v_mov_b32_e32 v13, 0
	s_mov_b64 s[18:19], 0
.LBB4_158:                              ;   Parent Loop BB4_140 Depth=1
                                        ; =>  This Inner Loop Header: Depth=2
	s_add_u32 s22, s4, s18
	s_addc_u32 s23, s5, s19
	global_load_ubyte v2, v26, s[22:23]
	s_add_u32 s18, s18, 1
	s_addc_u32 s19, s19, 0
	s_waitcnt vmcnt(0)
	v_and_b32_e32 v25, 0xffff, v2
	v_lshlrev_b64 v[2:3], s16, v[25:26]
	s_add_u32 s16, s16, 8
	s_addc_u32 s17, s17, 0
	v_or_b32_e32 v12, v2, v12
	s_cmp_lg_u32 s21, s18
	v_or_b32_e32 v13, v3, v13
	s_cbranch_scc1 .LBB4_158
	s_branch .LBB4_161
.LBB4_159:                              ;   in Loop: Header=BB4_140 Depth=1
                                        ; implicit-def: $sgpr20
	s_branch .LBB4_162
.LBB4_160:                              ;   in Loop: Header=BB4_140 Depth=1
	v_mov_b32_e32 v12, 0
	v_mov_b32_e32 v13, 0
.LBB4_161:                              ;   in Loop: Header=BB4_140 Depth=1
	s_mov_b32 s20, 0
	s_cbranch_execnz .LBB4_163
.LBB4_162:                              ;   in Loop: Header=BB4_140 Depth=1
	global_load_dwordx2 v[12:13], v26, s[4:5]
	s_add_i32 s20, s21, -8
	s_add_u32 s4, s4, 8
	s_addc_u32 s5, s5, 0
.LBB4_163:                              ;   in Loop: Header=BB4_140 Depth=1
	s_cmp_gt_u32 s20, 7
	s_cbranch_scc1 .LBB4_167
; %bb.164:                              ;   in Loop: Header=BB4_140 Depth=1
	s_cmp_eq_u32 s20, 0
	s_cbranch_scc1 .LBB4_168
; %bb.165:                              ;   in Loop: Header=BB4_140 Depth=1
	v_mov_b32_e32 v14, 0
	s_mov_b64 s[16:17], 0
	v_mov_b32_e32 v15, 0
	s_mov_b64 s[18:19], 0
.LBB4_166:                              ;   Parent Loop BB4_140 Depth=1
                                        ; =>  This Inner Loop Header: Depth=2
	s_add_u32 s22, s4, s18
	s_addc_u32 s23, s5, s19
	global_load_ubyte v2, v26, s[22:23]
	s_add_u32 s18, s18, 1
	s_addc_u32 s19, s19, 0
	s_waitcnt vmcnt(0)
	v_and_b32_e32 v25, 0xffff, v2
	v_lshlrev_b64 v[2:3], s16, v[25:26]
	s_add_u32 s16, s16, 8
	s_addc_u32 s17, s17, 0
	v_or_b32_e32 v14, v2, v14
	s_cmp_lg_u32 s20, s18
	v_or_b32_e32 v15, v3, v15
	s_cbranch_scc1 .LBB4_166
	s_branch .LBB4_169
.LBB4_167:                              ;   in Loop: Header=BB4_140 Depth=1
                                        ; implicit-def: $vgpr14_vgpr15
                                        ; implicit-def: $sgpr21
	s_branch .LBB4_170
.LBB4_168:                              ;   in Loop: Header=BB4_140 Depth=1
	v_mov_b32_e32 v14, 0
	v_mov_b32_e32 v15, 0
.LBB4_169:                              ;   in Loop: Header=BB4_140 Depth=1
	s_mov_b32 s21, 0
	s_cbranch_execnz .LBB4_171
.LBB4_170:                              ;   in Loop: Header=BB4_140 Depth=1
	global_load_dwordx2 v[14:15], v26, s[4:5]
	s_add_i32 s21, s20, -8
	s_add_u32 s4, s4, 8
	s_addc_u32 s5, s5, 0
.LBB4_171:                              ;   in Loop: Header=BB4_140 Depth=1
	s_cmp_gt_u32 s21, 7
	s_cbranch_scc1 .LBB4_175
; %bb.172:                              ;   in Loop: Header=BB4_140 Depth=1
	s_cmp_eq_u32 s21, 0
	s_cbranch_scc1 .LBB4_176
; %bb.173:                              ;   in Loop: Header=BB4_140 Depth=1
	v_mov_b32_e32 v16, 0
	s_mov_b64 s[16:17], 0
	v_mov_b32_e32 v17, 0
	s_mov_b64 s[18:19], 0
.LBB4_174:                              ;   Parent Loop BB4_140 Depth=1
                                        ; =>  This Inner Loop Header: Depth=2
	s_add_u32 s22, s4, s18
	s_addc_u32 s23, s5, s19
	global_load_ubyte v2, v26, s[22:23]
	s_add_u32 s18, s18, 1
	s_addc_u32 s19, s19, 0
	s_waitcnt vmcnt(0)
	v_and_b32_e32 v25, 0xffff, v2
	v_lshlrev_b64 v[2:3], s16, v[25:26]
	s_add_u32 s16, s16, 8
	s_addc_u32 s17, s17, 0
	v_or_b32_e32 v16, v2, v16
	s_cmp_lg_u32 s21, s18
	v_or_b32_e32 v17, v3, v17
	s_cbranch_scc1 .LBB4_174
	s_branch .LBB4_177
.LBB4_175:                              ;   in Loop: Header=BB4_140 Depth=1
                                        ; implicit-def: $sgpr20
	s_branch .LBB4_178
.LBB4_176:                              ;   in Loop: Header=BB4_140 Depth=1
	v_mov_b32_e32 v16, 0
	v_mov_b32_e32 v17, 0
.LBB4_177:                              ;   in Loop: Header=BB4_140 Depth=1
	s_mov_b32 s20, 0
	s_cbranch_execnz .LBB4_179
.LBB4_178:                              ;   in Loop: Header=BB4_140 Depth=1
	global_load_dwordx2 v[16:17], v26, s[4:5]
	s_add_i32 s20, s21, -8
	s_add_u32 s4, s4, 8
	s_addc_u32 s5, s5, 0
.LBB4_179:                              ;   in Loop: Header=BB4_140 Depth=1
	s_cmp_gt_u32 s20, 7
	s_cbranch_scc1 .LBB4_183
; %bb.180:                              ;   in Loop: Header=BB4_140 Depth=1
	s_cmp_eq_u32 s20, 0
	s_cbranch_scc1 .LBB4_184
; %bb.181:                              ;   in Loop: Header=BB4_140 Depth=1
	v_mov_b32_e32 v18, 0
	s_mov_b64 s[16:17], 0
	v_mov_b32_e32 v19, 0
	s_mov_b64 s[18:19], 0
.LBB4_182:                              ;   Parent Loop BB4_140 Depth=1
                                        ; =>  This Inner Loop Header: Depth=2
	s_add_u32 s22, s4, s18
	s_addc_u32 s23, s5, s19
	global_load_ubyte v2, v26, s[22:23]
	s_add_u32 s18, s18, 1
	s_addc_u32 s19, s19, 0
	s_waitcnt vmcnt(0)
	v_and_b32_e32 v25, 0xffff, v2
	v_lshlrev_b64 v[2:3], s16, v[25:26]
	s_add_u32 s16, s16, 8
	s_addc_u32 s17, s17, 0
	v_or_b32_e32 v18, v2, v18
	s_cmp_lg_u32 s20, s18
	v_or_b32_e32 v19, v3, v19
	s_cbranch_scc1 .LBB4_182
	s_branch .LBB4_185
.LBB4_183:                              ;   in Loop: Header=BB4_140 Depth=1
                                        ; implicit-def: $vgpr18_vgpr19
                                        ; implicit-def: $sgpr21
	s_branch .LBB4_186
.LBB4_184:                              ;   in Loop: Header=BB4_140 Depth=1
	v_mov_b32_e32 v18, 0
	v_mov_b32_e32 v19, 0
.LBB4_185:                              ;   in Loop: Header=BB4_140 Depth=1
	s_mov_b32 s21, 0
	s_cbranch_execnz .LBB4_187
.LBB4_186:                              ;   in Loop: Header=BB4_140 Depth=1
	global_load_dwordx2 v[18:19], v26, s[4:5]
	s_add_i32 s21, s20, -8
	s_add_u32 s4, s4, 8
	s_addc_u32 s5, s5, 0
.LBB4_187:                              ;   in Loop: Header=BB4_140 Depth=1
	s_cmp_gt_u32 s21, 7
	s_cbranch_scc1 .LBB4_191
; %bb.188:                              ;   in Loop: Header=BB4_140 Depth=1
	s_cmp_eq_u32 s21, 0
	s_cbranch_scc1 .LBB4_192
; %bb.189:                              ;   in Loop: Header=BB4_140 Depth=1
	v_mov_b32_e32 v20, 0
	s_mov_b64 s[16:17], 0
	v_mov_b32_e32 v21, 0
	s_mov_b64 s[18:19], s[4:5]
.LBB4_190:                              ;   Parent Loop BB4_140 Depth=1
                                        ; =>  This Inner Loop Header: Depth=2
	global_load_ubyte v2, v26, s[18:19]
	s_add_i32 s21, s21, -1
	s_waitcnt vmcnt(0)
	v_and_b32_e32 v25, 0xffff, v2
	v_lshlrev_b64 v[2:3], s16, v[25:26]
	s_add_u32 s16, s16, 8
	s_addc_u32 s17, s17, 0
	s_add_u32 s18, s18, 1
	s_addc_u32 s19, s19, 0
	v_or_b32_e32 v20, v2, v20
	s_cmp_lg_u32 s21, 0
	v_or_b32_e32 v21, v3, v21
	s_cbranch_scc1 .LBB4_190
	s_branch .LBB4_193
.LBB4_191:                              ;   in Loop: Header=BB4_140 Depth=1
	s_branch .LBB4_194
.LBB4_192:                              ;   in Loop: Header=BB4_140 Depth=1
	v_mov_b32_e32 v20, 0
	v_mov_b32_e32 v21, 0
.LBB4_193:                              ;   in Loop: Header=BB4_140 Depth=1
	s_cbranch_execnz .LBB4_195
.LBB4_194:                              ;   in Loop: Header=BB4_140 Depth=1
	global_load_dwordx2 v[20:21], v26, s[4:5]
.LBB4_195:                              ;   in Loop: Header=BB4_140 Depth=1
	v_readfirstlane_b32 s4, v29
	v_mov_b32_e32 v2, 0
	v_mov_b32_e32 v3, 0
	v_cmp_eq_u32_e64 s[4:5], s4, v29
	s_and_saveexec_b64 s[16:17], s[4:5]
	s_cbranch_execz .LBB4_201
; %bb.196:                              ;   in Loop: Header=BB4_140 Depth=1
	global_load_dwordx2 v[24:25], v26, s[6:7] offset:24 glc
	s_waitcnt vmcnt(0)
	buffer_wbinvl1_vol
	global_load_dwordx2 v[2:3], v26, s[6:7] offset:40
	global_load_dwordx2 v[22:23], v26, s[6:7]
	s_waitcnt vmcnt(1)
	v_and_b32_e32 v2, v2, v24
	v_and_b32_e32 v3, v3, v25
	v_mul_lo_u32 v3, v3, 24
	v_mul_hi_u32 v27, v2, 24
	v_mul_lo_u32 v2, v2, 24
	v_add_u32_e32 v3, v27, v3
	s_waitcnt vmcnt(0)
	v_add_co_u32_e32 v2, vcc, v22, v2
	v_addc_co_u32_e32 v3, vcc, v23, v3, vcc
	global_load_dwordx2 v[22:23], v[2:3], off glc
	s_waitcnt vmcnt(0)
	global_atomic_cmpswap_x2 v[2:3], v26, v[22:25], s[6:7] offset:24 glc
	s_waitcnt vmcnt(0)
	buffer_wbinvl1_vol
	v_cmp_ne_u64_e32 vcc, v[2:3], v[24:25]
	s_and_saveexec_b64 s[18:19], vcc
	s_cbranch_execz .LBB4_200
; %bb.197:                              ;   in Loop: Header=BB4_140 Depth=1
	s_mov_b64 s[20:21], 0
.LBB4_198:                              ;   Parent Loop BB4_140 Depth=1
                                        ; =>  This Inner Loop Header: Depth=2
	s_sleep 1
	global_load_dwordx2 v[22:23], v26, s[6:7] offset:40
	global_load_dwordx2 v[27:28], v26, s[6:7]
	v_mov_b32_e32 v25, v3
	v_mov_b32_e32 v24, v2
	s_waitcnt vmcnt(1)
	v_and_b32_e32 v2, v22, v24
	s_waitcnt vmcnt(0)
	v_mad_u64_u32 v[2:3], s[22:23], v2, 24, v[27:28]
	v_and_b32_e32 v22, v23, v25
	v_mad_u64_u32 v[22:23], s[22:23], v22, 24, v[3:4]
	v_mov_b32_e32 v3, v22
	global_load_dwordx2 v[22:23], v[2:3], off glc
	s_waitcnt vmcnt(0)
	global_atomic_cmpswap_x2 v[2:3], v26, v[22:25], s[6:7] offset:24 glc
	s_waitcnt vmcnt(0)
	buffer_wbinvl1_vol
	v_cmp_eq_u64_e32 vcc, v[2:3], v[24:25]
	s_or_b64 s[20:21], vcc, s[20:21]
	s_andn2_b64 exec, exec, s[20:21]
	s_cbranch_execnz .LBB4_198
; %bb.199:                              ;   in Loop: Header=BB4_140 Depth=1
	s_or_b64 exec, exec, s[20:21]
.LBB4_200:                              ;   in Loop: Header=BB4_140 Depth=1
	s_or_b64 exec, exec, s[18:19]
.LBB4_201:                              ;   in Loop: Header=BB4_140 Depth=1
	s_or_b64 exec, exec, s[16:17]
	global_load_dwordx2 v[27:28], v26, s[6:7] offset:40
	global_load_dwordx4 v[22:25], v26, s[6:7]
	v_readfirstlane_b32 s16, v2
	v_readfirstlane_b32 s17, v3
	s_mov_b64 s[18:19], exec
	s_waitcnt vmcnt(1)
	v_readfirstlane_b32 s20, v27
	v_readfirstlane_b32 s21, v28
	s_and_b64 s[20:21], s[16:17], s[20:21]
	s_mul_i32 s22, s21, 24
	s_mul_hi_u32 s23, s20, 24
	s_mul_i32 s24, s20, 24
	s_add_i32 s22, s23, s22
	v_mov_b32_e32 v2, s22
	s_waitcnt vmcnt(0)
	v_add_co_u32_e32 v27, vcc, s24, v22
	v_addc_co_u32_e32 v28, vcc, v23, v2, vcc
	s_and_saveexec_b64 s[22:23], s[4:5]
	s_cbranch_execz .LBB4_203
; %bb.202:                              ;   in Loop: Header=BB4_140 Depth=1
	v_mov_b32_e32 v2, s18
	v_mov_b32_e32 v3, s19
	global_store_dwordx4 v[27:28], v[2:5], off offset:8
.LBB4_203:                              ;   in Loop: Header=BB4_140 Depth=1
	s_or_b64 exec, exec, s[22:23]
	s_lshl_b64 s[18:19], s[20:21], 12
	v_mov_b32_e32 v2, s19
	v_add_co_u32_e32 v24, vcc, s18, v24
	v_addc_co_u32_e32 v31, vcc, v25, v2, vcc
	v_cmp_gt_u64_e64 vcc, s[12:13], 56
	v_or_b32_e32 v2, 2, v6
	s_lshl_b32 s18, s14, 2
	v_cndmask_b32_e32 v2, v2, v6, vcc
	s_add_i32 s18, s18, 28
	s_and_b32 s18, s18, 0x1e0
	v_and_b32_e32 v2, 0xffffff1f, v2
	v_or_b32_e32 v6, s18, v2
	v_readfirstlane_b32 s18, v24
	v_readfirstlane_b32 s19, v31
	s_nop 4
	global_store_dwordx4 v30, v[6:9], s[18:19]
	global_store_dwordx4 v30, v[10:13], s[18:19] offset:16
	global_store_dwordx4 v30, v[14:17], s[18:19] offset:32
	;; [unrolled: 1-line block ×3, first 2 shown]
	s_and_saveexec_b64 s[18:19], s[4:5]
	s_cbranch_execz .LBB4_211
; %bb.204:                              ;   in Loop: Header=BB4_140 Depth=1
	global_load_dwordx2 v[10:11], v26, s[6:7] offset:32 glc
	global_load_dwordx2 v[2:3], v26, s[6:7] offset:40
	v_mov_b32_e32 v8, s16
	v_mov_b32_e32 v9, s17
	s_waitcnt vmcnt(0)
	v_readfirstlane_b32 s20, v2
	v_readfirstlane_b32 s21, v3
	s_and_b64 s[20:21], s[20:21], s[16:17]
	s_mul_i32 s21, s21, 24
	s_mul_hi_u32 s22, s20, 24
	s_mul_i32 s20, s20, 24
	s_add_i32 s21, s22, s21
	v_mov_b32_e32 v3, s21
	v_add_co_u32_e32 v2, vcc, s20, v22
	v_addc_co_u32_e32 v3, vcc, v23, v3, vcc
	global_store_dwordx2 v[2:3], v[10:11], off
	s_waitcnt vmcnt(0)
	global_atomic_cmpswap_x2 v[8:9], v26, v[8:11], s[6:7] offset:32 glc
	s_waitcnt vmcnt(0)
	v_cmp_ne_u64_e32 vcc, v[8:9], v[10:11]
	s_and_saveexec_b64 s[20:21], vcc
	s_cbranch_execz .LBB4_207
; %bb.205:                              ;   in Loop: Header=BB4_140 Depth=1
	s_mov_b64 s[22:23], 0
.LBB4_206:                              ;   Parent Loop BB4_140 Depth=1
                                        ; =>  This Inner Loop Header: Depth=2
	s_sleep 1
	global_store_dwordx2 v[2:3], v[8:9], off
	v_mov_b32_e32 v6, s16
	v_mov_b32_e32 v7, s17
	s_waitcnt vmcnt(0)
	global_atomic_cmpswap_x2 v[6:7], v26, v[6:9], s[6:7] offset:32 glc
	s_waitcnt vmcnt(0)
	v_cmp_eq_u64_e32 vcc, v[6:7], v[8:9]
	v_mov_b32_e32 v9, v7
	s_or_b64 s[22:23], vcc, s[22:23]
	v_mov_b32_e32 v8, v6
	s_andn2_b64 exec, exec, s[22:23]
	s_cbranch_execnz .LBB4_206
.LBB4_207:                              ;   in Loop: Header=BB4_140 Depth=1
	s_or_b64 exec, exec, s[20:21]
	global_load_dwordx2 v[2:3], v26, s[6:7] offset:16
	s_mov_b64 s[22:23], exec
	v_mbcnt_lo_u32_b32 v6, s22, 0
	v_mbcnt_hi_u32_b32 v6, s23, v6
	v_cmp_eq_u32_e32 vcc, 0, v6
	s_and_saveexec_b64 s[20:21], vcc
	s_cbranch_execz .LBB4_209
; %bb.208:                              ;   in Loop: Header=BB4_140 Depth=1
	s_bcnt1_i32_b64 s22, s[22:23]
	v_mov_b32_e32 v25, s22
	s_waitcnt vmcnt(0)
	global_atomic_add_x2 v[2:3], v[25:26], off offset:8
.LBB4_209:                              ;   in Loop: Header=BB4_140 Depth=1
	s_or_b64 exec, exec, s[20:21]
	s_waitcnt vmcnt(0)
	global_load_dwordx2 v[6:7], v[2:3], off offset:16
	s_waitcnt vmcnt(0)
	v_cmp_eq_u64_e32 vcc, 0, v[6:7]
	s_cbranch_vccnz .LBB4_211
; %bb.210:                              ;   in Loop: Header=BB4_140 Depth=1
	global_load_dword v25, v[2:3], off offset:24
	s_waitcnt vmcnt(0)
	v_and_b32_e32 v2, 0xffffff, v25
	v_readfirstlane_b32 m0, v2
	global_store_dwordx2 v[6:7], v[25:26], off
	s_sendmsg sendmsg(MSG_INTERRUPT)
.LBB4_211:                              ;   in Loop: Header=BB4_140 Depth=1
	s_or_b64 exec, exec, s[18:19]
	v_add_co_u32_e32 v2, vcc, v24, v30
	v_addc_co_u32_e32 v3, vcc, 0, v31, vcc
	s_branch .LBB4_215
.LBB4_212:                              ;   in Loop: Header=BB4_215 Depth=2
	s_or_b64 exec, exec, s[18:19]
	v_readfirstlane_b32 s18, v6
	s_cmp_eq_u32 s18, 0
	s_cbranch_scc1 .LBB4_214
; %bb.213:                              ;   in Loop: Header=BB4_215 Depth=2
	s_sleep 1
	s_cbranch_execnz .LBB4_215
	s_branch .LBB4_217
.LBB4_214:                              ;   in Loop: Header=BB4_140 Depth=1
	s_branch .LBB4_217
.LBB4_215:                              ;   Parent Loop BB4_140 Depth=1
                                        ; =>  This Inner Loop Header: Depth=2
	v_mov_b32_e32 v6, 1
	s_and_saveexec_b64 s[18:19], s[4:5]
	s_cbranch_execz .LBB4_212
; %bb.216:                              ;   in Loop: Header=BB4_215 Depth=2
	global_load_dword v6, v[27:28], off offset:20 glc
	s_waitcnt vmcnt(0)
	buffer_wbinvl1_vol
	v_and_b32_e32 v6, 1, v6
	s_branch .LBB4_212
.LBB4_217:                              ;   in Loop: Header=BB4_140 Depth=1
	global_load_dwordx4 v[6:9], v[2:3], off
	s_and_saveexec_b64 s[18:19], s[4:5]
	s_cbranch_execz .LBB4_139
; %bb.218:                              ;   in Loop: Header=BB4_140 Depth=1
	global_load_dwordx2 v[2:3], v26, s[6:7] offset:40
	global_load_dwordx2 v[12:13], v26, s[6:7] offset:24 glc
	global_load_dwordx2 v[14:15], v26, s[6:7]
	s_waitcnt vmcnt(3)
	v_mov_b32_e32 v9, s17
	s_waitcnt vmcnt(2)
	v_add_co_u32_e32 v10, vcc, 1, v2
	v_addc_co_u32_e32 v11, vcc, 0, v3, vcc
	v_add_co_u32_e32 v8, vcc, s16, v10
	v_addc_co_u32_e32 v9, vcc, v11, v9, vcc
	v_cmp_eq_u64_e32 vcc, 0, v[8:9]
	v_cndmask_b32_e32 v9, v9, v11, vcc
	v_cndmask_b32_e32 v8, v8, v10, vcc
	v_and_b32_e32 v3, v9, v3
	v_and_b32_e32 v2, v8, v2
	v_mul_lo_u32 v3, v3, 24
	v_mul_hi_u32 v11, v2, 24
	v_mul_lo_u32 v2, v2, 24
	s_waitcnt vmcnt(1)
	v_mov_b32_e32 v10, v12
	v_add_u32_e32 v3, v11, v3
	s_waitcnt vmcnt(0)
	v_add_co_u32_e32 v2, vcc, v14, v2
	v_addc_co_u32_e32 v3, vcc, v15, v3, vcc
	global_store_dwordx2 v[2:3], v[12:13], off
	v_mov_b32_e32 v11, v13
	s_waitcnt vmcnt(0)
	global_atomic_cmpswap_x2 v[10:11], v26, v[8:11], s[6:7] offset:24 glc
	s_waitcnt vmcnt(0)
	v_cmp_ne_u64_e32 vcc, v[10:11], v[12:13]
	s_and_b64 exec, exec, vcc
	s_cbranch_execz .LBB4_139
; %bb.219:                              ;   in Loop: Header=BB4_140 Depth=1
	s_mov_b64 s[4:5], 0
.LBB4_220:                              ;   Parent Loop BB4_140 Depth=1
                                        ; =>  This Inner Loop Header: Depth=2
	s_sleep 1
	global_store_dwordx2 v[2:3], v[10:11], off
	s_waitcnt vmcnt(0)
	global_atomic_cmpswap_x2 v[12:13], v26, v[8:11], s[6:7] offset:24 glc
	s_waitcnt vmcnt(0)
	v_cmp_eq_u64_e32 vcc, v[12:13], v[10:11]
	v_mov_b32_e32 v10, v12
	s_or_b64 s[4:5], vcc, s[4:5]
	v_mov_b32_e32 v11, v13
	s_andn2_b64 exec, exec, s[4:5]
	s_cbranch_execnz .LBB4_220
	s_branch .LBB4_139
.LBB4_221:
.LBB4_222:
	s_or_b64 exec, exec, s[8:9]
	s_waitcnt vmcnt(0) lgkmcnt(0)
	s_setpc_b64 s[30:31]
.LBB4_223:
	s_cbranch_execz .LBB4_111
; %bb.224:
	v_readfirstlane_b32 s4, v29
	s_waitcnt vmcnt(0)
	v_mov_b32_e32 v8, 0
	v_mov_b32_e32 v9, 0
	v_cmp_eq_u32_e64 s[4:5], s4, v29
	s_and_saveexec_b64 s[10:11], s[4:5]
	s_cbranch_execz .LBB4_230
; %bb.225:
	v_mov_b32_e32 v2, 0
	global_load_dwordx2 v[5:6], v2, s[6:7] offset:24 glc
	s_waitcnt vmcnt(0)
	buffer_wbinvl1_vol
	global_load_dwordx2 v[3:4], v2, s[6:7] offset:40
	global_load_dwordx2 v[7:8], v2, s[6:7]
	s_waitcnt vmcnt(1)
	v_and_b32_e32 v3, v3, v5
	v_and_b32_e32 v4, v4, v6
	v_mul_lo_u32 v4, v4, 24
	v_mul_hi_u32 v9, v3, 24
	v_mul_lo_u32 v3, v3, 24
	v_add_u32_e32 v4, v9, v4
	s_waitcnt vmcnt(0)
	v_add_co_u32_e32 v3, vcc, v7, v3
	v_addc_co_u32_e32 v4, vcc, v8, v4, vcc
	global_load_dwordx2 v[3:4], v[3:4], off glc
	s_waitcnt vmcnt(0)
	global_atomic_cmpswap_x2 v[8:9], v2, v[3:6], s[6:7] offset:24 glc
	s_waitcnt vmcnt(0)
	buffer_wbinvl1_vol
	v_cmp_ne_u64_e32 vcc, v[8:9], v[5:6]
	s_and_saveexec_b64 s[12:13], vcc
	s_cbranch_execz .LBB4_229
; %bb.226:
	s_mov_b64 s[14:15], 0
.LBB4_227:                              ; =>This Inner Loop Header: Depth=1
	s_sleep 1
	global_load_dwordx2 v[3:4], v2, s[6:7] offset:40
	global_load_dwordx2 v[10:11], v2, s[6:7]
	v_mov_b32_e32 v5, v8
	v_mov_b32_e32 v6, v9
	s_waitcnt vmcnt(1)
	v_and_b32_e32 v3, v3, v5
	s_waitcnt vmcnt(0)
	v_mad_u64_u32 v[7:8], s[16:17], v3, 24, v[10:11]
	v_and_b32_e32 v4, v4, v6
	v_mov_b32_e32 v3, v8
	v_mad_u64_u32 v[3:4], s[16:17], v4, 24, v[3:4]
	v_mov_b32_e32 v8, v3
	global_load_dwordx2 v[3:4], v[7:8], off glc
	s_waitcnt vmcnt(0)
	global_atomic_cmpswap_x2 v[8:9], v2, v[3:6], s[6:7] offset:24 glc
	s_waitcnt vmcnt(0)
	buffer_wbinvl1_vol
	v_cmp_eq_u64_e32 vcc, v[8:9], v[5:6]
	s_or_b64 s[14:15], vcc, s[14:15]
	s_andn2_b64 exec, exec, s[14:15]
	s_cbranch_execnz .LBB4_227
; %bb.228:
	s_or_b64 exec, exec, s[14:15]
.LBB4_229:
	s_or_b64 exec, exec, s[12:13]
.LBB4_230:
	s_or_b64 exec, exec, s[10:11]
	v_mov_b32_e32 v2, 0
	global_load_dwordx2 v[10:11], v2, s[6:7] offset:40
	global_load_dwordx4 v[4:7], v2, s[6:7]
	v_readfirstlane_b32 s10, v8
	v_readfirstlane_b32 s11, v9
	s_mov_b64 s[12:13], exec
	s_waitcnt vmcnt(1)
	v_readfirstlane_b32 s14, v10
	v_readfirstlane_b32 s15, v11
	s_and_b64 s[14:15], s[10:11], s[14:15]
	s_mul_i32 s16, s15, 24
	s_mul_hi_u32 s17, s14, 24
	s_mul_i32 s18, s14, 24
	s_add_i32 s16, s17, s16
	v_mov_b32_e32 v3, s16
	s_waitcnt vmcnt(0)
	v_add_co_u32_e32 v8, vcc, s18, v4
	v_addc_co_u32_e32 v9, vcc, v5, v3, vcc
	s_and_saveexec_b64 s[16:17], s[4:5]
	s_cbranch_execz .LBB4_232
; %bb.231:
	v_mov_b32_e32 v10, s12
	v_mov_b32_e32 v11, s13
	;; [unrolled: 1-line block ×4, first 2 shown]
	global_store_dwordx4 v[8:9], v[10:13], off offset:8
.LBB4_232:
	s_or_b64 exec, exec, s[16:17]
	s_lshl_b64 s[12:13], s[14:15], 12
	v_mov_b32_e32 v3, s13
	v_add_co_u32_e32 v6, vcc, s12, v6
	v_addc_co_u32_e32 v7, vcc, v7, v3, vcc
	s_movk_i32 s12, 0xff1d
	v_and_or_b32 v0, v0, s12, 34
	s_mov_b32 s12, 0
	v_mov_b32_e32 v3, v2
	v_readfirstlane_b32 s16, v6
	v_readfirstlane_b32 s17, v7
	s_mov_b32 s13, s12
	s_mov_b32 s14, s12
	;; [unrolled: 1-line block ×3, first 2 shown]
	s_nop 1
	global_store_dwordx4 v30, v[0:3], s[16:17]
	s_nop 0
	v_mov_b32_e32 v0, s12
	v_mov_b32_e32 v1, s13
	;; [unrolled: 1-line block ×4, first 2 shown]
	global_store_dwordx4 v30, v[0:3], s[16:17] offset:16
	global_store_dwordx4 v30, v[0:3], s[16:17] offset:32
	;; [unrolled: 1-line block ×3, first 2 shown]
	s_and_saveexec_b64 s[12:13], s[4:5]
	s_cbranch_execz .LBB4_240
; %bb.233:
	v_mov_b32_e32 v6, 0
	global_load_dwordx2 v[12:13], v6, s[6:7] offset:32 glc
	global_load_dwordx2 v[0:1], v6, s[6:7] offset:40
	v_mov_b32_e32 v10, s10
	v_mov_b32_e32 v11, s11
	s_waitcnt vmcnt(0)
	v_readfirstlane_b32 s14, v0
	v_readfirstlane_b32 s15, v1
	s_and_b64 s[14:15], s[14:15], s[10:11]
	s_mul_i32 s15, s15, 24
	s_mul_hi_u32 s16, s14, 24
	s_mul_i32 s14, s14, 24
	s_add_i32 s15, s16, s15
	v_mov_b32_e32 v0, s15
	v_add_co_u32_e32 v4, vcc, s14, v4
	v_addc_co_u32_e32 v5, vcc, v5, v0, vcc
	global_store_dwordx2 v[4:5], v[12:13], off
	s_waitcnt vmcnt(0)
	global_atomic_cmpswap_x2 v[2:3], v6, v[10:13], s[6:7] offset:32 glc
	s_waitcnt vmcnt(0)
	v_cmp_ne_u64_e32 vcc, v[2:3], v[12:13]
	s_and_saveexec_b64 s[14:15], vcc
	s_cbranch_execz .LBB4_236
; %bb.234:
	s_mov_b64 s[16:17], 0
.LBB4_235:                              ; =>This Inner Loop Header: Depth=1
	s_sleep 1
	global_store_dwordx2 v[4:5], v[2:3], off
	v_mov_b32_e32 v0, s10
	v_mov_b32_e32 v1, s11
	s_waitcnt vmcnt(0)
	global_atomic_cmpswap_x2 v[0:1], v6, v[0:3], s[6:7] offset:32 glc
	s_waitcnt vmcnt(0)
	v_cmp_eq_u64_e32 vcc, v[0:1], v[2:3]
	v_mov_b32_e32 v3, v1
	s_or_b64 s[16:17], vcc, s[16:17]
	v_mov_b32_e32 v2, v0
	s_andn2_b64 exec, exec, s[16:17]
	s_cbranch_execnz .LBB4_235
.LBB4_236:
	s_or_b64 exec, exec, s[14:15]
	v_mov_b32_e32 v3, 0
	global_load_dwordx2 v[0:1], v3, s[6:7] offset:16
	s_mov_b64 s[14:15], exec
	v_mbcnt_lo_u32_b32 v2, s14, 0
	v_mbcnt_hi_u32_b32 v2, s15, v2
	v_cmp_eq_u32_e32 vcc, 0, v2
	s_and_saveexec_b64 s[16:17], vcc
	s_cbranch_execz .LBB4_238
; %bb.237:
	s_bcnt1_i32_b64 s14, s[14:15]
	v_mov_b32_e32 v2, s14
	s_waitcnt vmcnt(0)
	global_atomic_add_x2 v[0:1], v[2:3], off offset:8
.LBB4_238:
	s_or_b64 exec, exec, s[16:17]
	s_waitcnt vmcnt(0)
	global_load_dwordx2 v[2:3], v[0:1], off offset:16
	s_waitcnt vmcnt(0)
	v_cmp_eq_u64_e32 vcc, 0, v[2:3]
	s_cbranch_vccnz .LBB4_240
; %bb.239:
	global_load_dword v0, v[0:1], off offset:24
	v_mov_b32_e32 v1, 0
	s_waitcnt vmcnt(0)
	global_store_dwordx2 v[2:3], v[0:1], off
	v_and_b32_e32 v0, 0xffffff, v0
	v_readfirstlane_b32 m0, v0
	s_sendmsg sendmsg(MSG_INTERRUPT)
.LBB4_240:
	s_or_b64 exec, exec, s[12:13]
	s_branch .LBB4_244
.LBB4_241:                              ;   in Loop: Header=BB4_244 Depth=1
	s_or_b64 exec, exec, s[12:13]
	v_readfirstlane_b32 s12, v0
	s_cmp_eq_u32 s12, 0
	s_cbranch_scc1 .LBB4_243
; %bb.242:                              ;   in Loop: Header=BB4_244 Depth=1
	s_sleep 1
	s_cbranch_execnz .LBB4_244
	s_branch .LBB4_246
.LBB4_243:
	s_branch .LBB4_246
.LBB4_244:                              ; =>This Inner Loop Header: Depth=1
	v_mov_b32_e32 v0, 1
	s_and_saveexec_b64 s[12:13], s[4:5]
	s_cbranch_execz .LBB4_241
; %bb.245:                              ;   in Loop: Header=BB4_244 Depth=1
	global_load_dword v0, v[8:9], off offset:20 glc
	s_waitcnt vmcnt(0)
	buffer_wbinvl1_vol
	v_and_b32_e32 v0, 1, v0
	s_branch .LBB4_241
.LBB4_246:
	s_and_saveexec_b64 s[12:13], s[4:5]
	s_cbranch_execz .LBB4_249
; %bb.247:
	v_mov_b32_e32 v6, 0
	global_load_dwordx2 v[2:3], v6, s[6:7] offset:40
	global_load_dwordx2 v[7:8], v6, s[6:7] offset:24 glc
	global_load_dwordx2 v[4:5], v6, s[6:7]
	v_mov_b32_e32 v1, s11
	s_mov_b64 s[4:5], 0
	s_waitcnt vmcnt(2)
	v_add_co_u32_e32 v9, vcc, 1, v2
	v_addc_co_u32_e32 v10, vcc, 0, v3, vcc
	v_add_co_u32_e32 v0, vcc, s10, v9
	v_addc_co_u32_e32 v1, vcc, v10, v1, vcc
	v_cmp_eq_u64_e32 vcc, 0, v[0:1]
	v_cndmask_b32_e32 v1, v1, v10, vcc
	v_cndmask_b32_e32 v0, v0, v9, vcc
	v_and_b32_e32 v3, v1, v3
	v_and_b32_e32 v2, v0, v2
	v_mul_lo_u32 v3, v3, 24
	v_mul_hi_u32 v9, v2, 24
	v_mul_lo_u32 v10, v2, 24
	s_waitcnt vmcnt(1)
	v_mov_b32_e32 v2, v7
	v_add_u32_e32 v3, v9, v3
	s_waitcnt vmcnt(0)
	v_add_co_u32_e32 v4, vcc, v4, v10
	v_addc_co_u32_e32 v5, vcc, v5, v3, vcc
	global_store_dwordx2 v[4:5], v[7:8], off
	v_mov_b32_e32 v3, v8
	s_waitcnt vmcnt(0)
	global_atomic_cmpswap_x2 v[2:3], v6, v[0:3], s[6:7] offset:24 glc
	s_waitcnt vmcnt(0)
	v_cmp_ne_u64_e32 vcc, v[2:3], v[7:8]
	s_and_b64 exec, exec, vcc
	s_cbranch_execz .LBB4_249
.LBB4_248:                              ; =>This Inner Loop Header: Depth=1
	s_sleep 1
	global_store_dwordx2 v[4:5], v[2:3], off
	s_waitcnt vmcnt(0)
	global_atomic_cmpswap_x2 v[7:8], v6, v[0:3], s[6:7] offset:24 glc
	s_waitcnt vmcnt(0)
	v_cmp_eq_u64_e32 vcc, v[7:8], v[2:3]
	v_mov_b32_e32 v2, v7
	s_or_b64 s[4:5], vcc, s[4:5]
	v_mov_b32_e32 v3, v8
	s_andn2_b64 exec, exec, s[4:5]
	s_cbranch_execnz .LBB4_248
.LBB4_249:
	s_or_b64 exec, exec, s[12:13]
                                        ; implicit-def: $vgpr29
	s_andn2_saveexec_b64 s[8:9], s[8:9]
	s_cbranch_execnz .LBB4_112
	s_branch .LBB4_222
.LBB4_250:
	s_cbranch_execz .LBB4_222
; %bb.251:
	v_readfirstlane_b32 s4, v29
	s_waitcnt vmcnt(0)
	v_mov_b32_e32 v8, 0
	v_mov_b32_e32 v9, 0
	v_cmp_eq_u32_e64 s[4:5], s4, v29
	s_and_saveexec_b64 s[10:11], s[4:5]
	s_cbranch_execz .LBB4_257
; %bb.252:
	v_mov_b32_e32 v2, 0
	global_load_dwordx2 v[5:6], v2, s[6:7] offset:24 glc
	s_waitcnt vmcnt(0)
	buffer_wbinvl1_vol
	global_load_dwordx2 v[3:4], v2, s[6:7] offset:40
	global_load_dwordx2 v[7:8], v2, s[6:7]
	s_waitcnt vmcnt(1)
	v_and_b32_e32 v3, v3, v5
	v_and_b32_e32 v4, v4, v6
	v_mul_lo_u32 v4, v4, 24
	v_mul_hi_u32 v9, v3, 24
	v_mul_lo_u32 v3, v3, 24
	v_add_u32_e32 v4, v9, v4
	s_waitcnt vmcnt(0)
	v_add_co_u32_e32 v3, vcc, v7, v3
	v_addc_co_u32_e32 v4, vcc, v8, v4, vcc
	global_load_dwordx2 v[3:4], v[3:4], off glc
	s_waitcnt vmcnt(0)
	global_atomic_cmpswap_x2 v[8:9], v2, v[3:6], s[6:7] offset:24 glc
	s_waitcnt vmcnt(0)
	buffer_wbinvl1_vol
	v_cmp_ne_u64_e32 vcc, v[8:9], v[5:6]
	s_and_saveexec_b64 s[12:13], vcc
	s_cbranch_execz .LBB4_256
; %bb.253:
	s_mov_b64 s[14:15], 0
.LBB4_254:                              ; =>This Inner Loop Header: Depth=1
	s_sleep 1
	global_load_dwordx2 v[3:4], v2, s[6:7] offset:40
	global_load_dwordx2 v[10:11], v2, s[6:7]
	v_mov_b32_e32 v5, v8
	v_mov_b32_e32 v6, v9
	s_waitcnt vmcnt(1)
	v_and_b32_e32 v3, v3, v5
	s_waitcnt vmcnt(0)
	v_mad_u64_u32 v[7:8], s[16:17], v3, 24, v[10:11]
	v_and_b32_e32 v4, v4, v6
	v_mov_b32_e32 v3, v8
	v_mad_u64_u32 v[3:4], s[16:17], v4, 24, v[3:4]
	v_mov_b32_e32 v8, v3
	global_load_dwordx2 v[3:4], v[7:8], off glc
	s_waitcnt vmcnt(0)
	global_atomic_cmpswap_x2 v[8:9], v2, v[3:6], s[6:7] offset:24 glc
	s_waitcnt vmcnt(0)
	buffer_wbinvl1_vol
	v_cmp_eq_u64_e32 vcc, v[8:9], v[5:6]
	s_or_b64 s[14:15], vcc, s[14:15]
	s_andn2_b64 exec, exec, s[14:15]
	s_cbranch_execnz .LBB4_254
; %bb.255:
	s_or_b64 exec, exec, s[14:15]
.LBB4_256:
	s_or_b64 exec, exec, s[12:13]
.LBB4_257:
	s_or_b64 exec, exec, s[10:11]
	v_mov_b32_e32 v2, 0
	global_load_dwordx2 v[10:11], v2, s[6:7] offset:40
	global_load_dwordx4 v[4:7], v2, s[6:7]
	v_readfirstlane_b32 s10, v8
	v_readfirstlane_b32 s11, v9
	s_mov_b64 s[12:13], exec
	s_waitcnt vmcnt(1)
	v_readfirstlane_b32 s14, v10
	v_readfirstlane_b32 s15, v11
	s_and_b64 s[14:15], s[10:11], s[14:15]
	s_mul_i32 s16, s15, 24
	s_mul_hi_u32 s17, s14, 24
	s_mul_i32 s18, s14, 24
	s_add_i32 s16, s17, s16
	v_mov_b32_e32 v3, s16
	s_waitcnt vmcnt(0)
	v_add_co_u32_e32 v8, vcc, s18, v4
	v_addc_co_u32_e32 v9, vcc, v5, v3, vcc
	s_and_saveexec_b64 s[16:17], s[4:5]
	s_cbranch_execz .LBB4_259
; %bb.258:
	v_mov_b32_e32 v10, s12
	v_mov_b32_e32 v11, s13
	;; [unrolled: 1-line block ×4, first 2 shown]
	global_store_dwordx4 v[8:9], v[10:13], off offset:8
.LBB4_259:
	s_or_b64 exec, exec, s[16:17]
	s_lshl_b64 s[12:13], s[14:15], 12
	v_mov_b32_e32 v3, s13
	v_add_co_u32_e32 v6, vcc, s12, v6
	v_addc_co_u32_e32 v7, vcc, v7, v3, vcc
	s_movk_i32 s12, 0xff1d
	v_and_or_b32 v0, v0, s12, 34
	s_mov_b32 s12, 0
	v_mov_b32_e32 v3, v2
	v_readfirstlane_b32 s16, v6
	v_readfirstlane_b32 s17, v7
	s_mov_b32 s13, s12
	s_mov_b32 s14, s12
	;; [unrolled: 1-line block ×3, first 2 shown]
	s_nop 1
	global_store_dwordx4 v30, v[0:3], s[16:17]
	s_nop 0
	v_mov_b32_e32 v0, s12
	v_mov_b32_e32 v1, s13
	;; [unrolled: 1-line block ×4, first 2 shown]
	global_store_dwordx4 v30, v[0:3], s[16:17] offset:16
	global_store_dwordx4 v30, v[0:3], s[16:17] offset:32
	;; [unrolled: 1-line block ×3, first 2 shown]
	s_and_saveexec_b64 s[12:13], s[4:5]
	s_cbranch_execz .LBB4_267
; %bb.260:
	v_mov_b32_e32 v6, 0
	global_load_dwordx2 v[12:13], v6, s[6:7] offset:32 glc
	global_load_dwordx2 v[0:1], v6, s[6:7] offset:40
	v_mov_b32_e32 v10, s10
	v_mov_b32_e32 v11, s11
	s_waitcnt vmcnt(0)
	v_readfirstlane_b32 s14, v0
	v_readfirstlane_b32 s15, v1
	s_and_b64 s[14:15], s[14:15], s[10:11]
	s_mul_i32 s15, s15, 24
	s_mul_hi_u32 s16, s14, 24
	s_mul_i32 s14, s14, 24
	s_add_i32 s15, s16, s15
	v_mov_b32_e32 v0, s15
	v_add_co_u32_e32 v4, vcc, s14, v4
	v_addc_co_u32_e32 v5, vcc, v5, v0, vcc
	global_store_dwordx2 v[4:5], v[12:13], off
	s_waitcnt vmcnt(0)
	global_atomic_cmpswap_x2 v[2:3], v6, v[10:13], s[6:7] offset:32 glc
	s_waitcnt vmcnt(0)
	v_cmp_ne_u64_e32 vcc, v[2:3], v[12:13]
	s_and_saveexec_b64 s[14:15], vcc
	s_cbranch_execz .LBB4_263
; %bb.261:
	s_mov_b64 s[16:17], 0
.LBB4_262:                              ; =>This Inner Loop Header: Depth=1
	s_sleep 1
	global_store_dwordx2 v[4:5], v[2:3], off
	v_mov_b32_e32 v0, s10
	v_mov_b32_e32 v1, s11
	s_waitcnt vmcnt(0)
	global_atomic_cmpswap_x2 v[0:1], v6, v[0:3], s[6:7] offset:32 glc
	s_waitcnt vmcnt(0)
	v_cmp_eq_u64_e32 vcc, v[0:1], v[2:3]
	v_mov_b32_e32 v3, v1
	s_or_b64 s[16:17], vcc, s[16:17]
	v_mov_b32_e32 v2, v0
	s_andn2_b64 exec, exec, s[16:17]
	s_cbranch_execnz .LBB4_262
.LBB4_263:
	s_or_b64 exec, exec, s[14:15]
	v_mov_b32_e32 v3, 0
	global_load_dwordx2 v[0:1], v3, s[6:7] offset:16
	s_mov_b64 s[14:15], exec
	v_mbcnt_lo_u32_b32 v2, s14, 0
	v_mbcnt_hi_u32_b32 v2, s15, v2
	v_cmp_eq_u32_e32 vcc, 0, v2
	s_and_saveexec_b64 s[16:17], vcc
	s_cbranch_execz .LBB4_265
; %bb.264:
	s_bcnt1_i32_b64 s14, s[14:15]
	v_mov_b32_e32 v2, s14
	s_waitcnt vmcnt(0)
	global_atomic_add_x2 v[0:1], v[2:3], off offset:8
.LBB4_265:
	s_or_b64 exec, exec, s[16:17]
	s_waitcnt vmcnt(0)
	global_load_dwordx2 v[2:3], v[0:1], off offset:16
	s_waitcnt vmcnt(0)
	v_cmp_eq_u64_e32 vcc, 0, v[2:3]
	s_cbranch_vccnz .LBB4_267
; %bb.266:
	global_load_dword v0, v[0:1], off offset:24
	v_mov_b32_e32 v1, 0
	s_waitcnt vmcnt(0)
	global_store_dwordx2 v[2:3], v[0:1], off
	v_and_b32_e32 v0, 0xffffff, v0
	v_readfirstlane_b32 m0, v0
	s_sendmsg sendmsg(MSG_INTERRUPT)
.LBB4_267:
	s_or_b64 exec, exec, s[12:13]
	s_branch .LBB4_271
.LBB4_268:                              ;   in Loop: Header=BB4_271 Depth=1
	s_or_b64 exec, exec, s[12:13]
	v_readfirstlane_b32 s12, v0
	s_cmp_eq_u32 s12, 0
	s_cbranch_scc1 .LBB4_270
; %bb.269:                              ;   in Loop: Header=BB4_271 Depth=1
	s_sleep 1
	s_cbranch_execnz .LBB4_271
	s_branch .LBB4_273
.LBB4_270:
	s_branch .LBB4_273
.LBB4_271:                              ; =>This Inner Loop Header: Depth=1
	v_mov_b32_e32 v0, 1
	s_and_saveexec_b64 s[12:13], s[4:5]
	s_cbranch_execz .LBB4_268
; %bb.272:                              ;   in Loop: Header=BB4_271 Depth=1
	global_load_dword v0, v[8:9], off offset:20 glc
	s_waitcnt vmcnt(0)
	buffer_wbinvl1_vol
	v_and_b32_e32 v0, 1, v0
	s_branch .LBB4_268
.LBB4_273:
	s_and_saveexec_b64 s[12:13], s[4:5]
	s_cbranch_execz .LBB4_276
; %bb.274:
	v_mov_b32_e32 v6, 0
	global_load_dwordx2 v[2:3], v6, s[6:7] offset:40
	global_load_dwordx2 v[7:8], v6, s[6:7] offset:24 glc
	global_load_dwordx2 v[4:5], v6, s[6:7]
	v_mov_b32_e32 v1, s11
	s_mov_b64 s[4:5], 0
	s_waitcnt vmcnt(2)
	v_add_co_u32_e32 v9, vcc, 1, v2
	v_addc_co_u32_e32 v10, vcc, 0, v3, vcc
	v_add_co_u32_e32 v0, vcc, s10, v9
	v_addc_co_u32_e32 v1, vcc, v10, v1, vcc
	v_cmp_eq_u64_e32 vcc, 0, v[0:1]
	v_cndmask_b32_e32 v1, v1, v10, vcc
	v_cndmask_b32_e32 v0, v0, v9, vcc
	v_and_b32_e32 v3, v1, v3
	v_and_b32_e32 v2, v0, v2
	v_mul_lo_u32 v3, v3, 24
	v_mul_hi_u32 v9, v2, 24
	v_mul_lo_u32 v10, v2, 24
	s_waitcnt vmcnt(1)
	v_mov_b32_e32 v2, v7
	v_add_u32_e32 v3, v9, v3
	s_waitcnt vmcnt(0)
	v_add_co_u32_e32 v4, vcc, v4, v10
	v_addc_co_u32_e32 v5, vcc, v5, v3, vcc
	global_store_dwordx2 v[4:5], v[7:8], off
	v_mov_b32_e32 v3, v8
	s_waitcnt vmcnt(0)
	global_atomic_cmpswap_x2 v[2:3], v6, v[0:3], s[6:7] offset:24 glc
	s_waitcnt vmcnt(0)
	v_cmp_ne_u64_e32 vcc, v[2:3], v[7:8]
	s_and_b64 exec, exec, vcc
	s_cbranch_execz .LBB4_276
.LBB4_275:                              ; =>This Inner Loop Header: Depth=1
	s_sleep 1
	global_store_dwordx2 v[4:5], v[2:3], off
	s_waitcnt vmcnt(0)
	global_atomic_cmpswap_x2 v[7:8], v6, v[0:3], s[6:7] offset:24 glc
	s_waitcnt vmcnt(0)
	v_cmp_eq_u64_e32 vcc, v[7:8], v[2:3]
	v_mov_b32_e32 v2, v7
	s_or_b64 s[4:5], vcc, s[4:5]
	v_mov_b32_e32 v3, v8
	s_andn2_b64 exec, exec, s[4:5]
	s_cbranch_execnz .LBB4_275
.LBB4_276:
	s_or_b64 exec, exec, s[12:13]
	s_or_b64 exec, exec, s[8:9]
	s_waitcnt vmcnt(0) lgkmcnt(0)
	s_setpc_b64 s[30:31]
.Lfunc_end4:
	.size	_ZN8migraphx4test12print_streamIKNS_13basic_printerIZNS_4coutEvEUlT_E_EEPiEEvRS3_RKT0_, .Lfunc_end4-_ZN8migraphx4test12print_streamIKNS_13basic_printerIZNS_4coutEvEUlT_E_EEPiEEvRS3_RKT0_
                                        ; -- End function
	.section	.AMDGPU.csdata,"",@progbits
; Function info:
; codeLenInByte = 9228
; NumSgprs: 36
; NumVgprs: 32
; ScratchSize: 0
; MemoryBound: 0
	.text
	.p2align	2                               ; -- Begin function _ZN8migraphx4test12test_manager6failedINS0_10expressionINS0_14lhs_expressionIRPiNS0_3nopEEES5_NS0_5equalEEEPFvvEEEvRKT_PKcSH_SH_iT0_
	.type	_ZN8migraphx4test12test_manager6failedINS0_10expressionINS0_14lhs_expressionIRPiNS0_3nopEEES5_NS0_5equalEEEPFvvEEEvRKT_PKcSH_SH_iT0_,@function
_ZN8migraphx4test12test_manager6failedINS0_10expressionINS0_14lhs_expressionIRPiNS0_3nopEEES5_NS0_5equalEEEPFvvEEEvRKT_PKcSH_SH_iT0_: ; @_ZN8migraphx4test12test_manager6failedINS0_10expressionINS0_14lhs_expressionIRPiNS0_3nopEEES5_NS0_5equalEEEPFvvEEEvRKT_PKcSH_SH_iT0_
; %bb.0:
	s_waitcnt vmcnt(0) expcnt(0) lgkmcnt(0)
	s_mov_b32 s4, s33
	s_mov_b32 s33, s32
	s_or_saveexec_b64 s[6:7], -1
	buffer_store_dword v40, off, s[0:3], s33 ; 4-byte Folded Spill
	s_mov_b64 exec, s[6:7]
	v_writelane_b32 v40, s4, 2
	v_writelane_b32 v40, s30, 0
	s_addk_i32 s32, 0x400
	v_writelane_b32 v40, s31, 1
	v_mov_b32_e32 v39, v3
	v_mov_b32_e32 v38, v2
	;; [unrolled: 1-line block ×4, first 2 shown]
	flat_load_dwordx4 v[0:3], v[38:39]
	s_waitcnt vmcnt(0) lgkmcnt(0)
	flat_load_dwordx2 v[0:1], v[0:1]
	s_waitcnt vmcnt(0) lgkmcnt(0)
	v_cmp_ne_u64_e32 vcc, v[0:1], v[2:3]
	s_and_saveexec_b64 s[28:29], vcc
	s_cbranch_execz .LBB5_1729
; %bb.1:
	v_and_b32_e32 v0, 0x3ff, v31
	v_cmp_eq_u32_e32 vcc, 0, v0
	s_and_saveexec_b64 s[34:35], vcc
	s_cbranch_execz .LBB5_1728
; %bb.2:
	s_load_dwordx2 s[36:37], s[8:9], 0x50
	v_mbcnt_lo_u32_b32 v0, -1, 0
	v_mbcnt_hi_u32_b32 v51, -1, v0
	v_readfirstlane_b32 s4, v51
	v_mov_b32_e32 v11, 0
	v_mov_b32_e32 v12, 0
	v_cmp_eq_u32_e64 s[4:5], s4, v51
	s_and_saveexec_b64 s[6:7], s[4:5]
	s_cbranch_execz .LBB5_8
; %bb.3:
	v_mov_b32_e32 v0, 0
	s_waitcnt lgkmcnt(0)
	global_load_dwordx2 v[13:14], v0, s[36:37] offset:24 glc
	s_waitcnt vmcnt(0)
	buffer_wbinvl1_vol
	global_load_dwordx2 v[1:2], v0, s[36:37] offset:40
	global_load_dwordx2 v[9:10], v0, s[36:37]
	s_waitcnt vmcnt(1)
	v_and_b32_e32 v1, v1, v13
	v_and_b32_e32 v2, v2, v14
	v_mul_lo_u32 v2, v2, 24
	v_mul_hi_u32 v3, v1, 24
	v_mul_lo_u32 v1, v1, 24
	v_add_u32_e32 v2, v3, v2
	s_waitcnt vmcnt(0)
	v_add_co_u32_e32 v1, vcc, v9, v1
	v_addc_co_u32_e32 v2, vcc, v10, v2, vcc
	global_load_dwordx2 v[11:12], v[1:2], off glc
	s_waitcnt vmcnt(0)
	global_atomic_cmpswap_x2 v[11:12], v0, v[11:14], s[36:37] offset:24 glc
	s_waitcnt vmcnt(0)
	buffer_wbinvl1_vol
	v_cmp_ne_u64_e32 vcc, v[11:12], v[13:14]
	s_and_saveexec_b64 s[10:11], vcc
	s_cbranch_execz .LBB5_7
; %bb.4:
	s_mov_b64 s[16:17], 0
.LBB5_5:                                ; =>This Inner Loop Header: Depth=1
	s_sleep 1
	global_load_dwordx2 v[1:2], v0, s[36:37] offset:40
	global_load_dwordx2 v[9:10], v0, s[36:37]
	v_mov_b32_e32 v14, v12
	v_mov_b32_e32 v13, v11
	s_waitcnt vmcnt(1)
	v_and_b32_e32 v1, v1, v13
	s_waitcnt vmcnt(0)
	v_mad_u64_u32 v[9:10], s[18:19], v1, 24, v[9:10]
	v_and_b32_e32 v2, v2, v14
	v_mov_b32_e32 v1, v10
	v_mad_u64_u32 v[1:2], s[18:19], v2, 24, v[1:2]
	v_mov_b32_e32 v10, v1
	global_load_dwordx2 v[11:12], v[9:10], off glc
	s_waitcnt vmcnt(0)
	global_atomic_cmpswap_x2 v[11:12], v0, v[11:14], s[36:37] offset:24 glc
	s_waitcnt vmcnt(0)
	buffer_wbinvl1_vol
	v_cmp_eq_u64_e32 vcc, v[11:12], v[13:14]
	s_or_b64 s[16:17], vcc, s[16:17]
	s_andn2_b64 exec, exec, s[16:17]
	s_cbranch_execnz .LBB5_5
; %bb.6:
	s_or_b64 exec, exec, s[16:17]
.LBB5_7:
	s_or_b64 exec, exec, s[10:11]
.LBB5_8:
	s_or_b64 exec, exec, s[6:7]
	v_mov_b32_e32 v10, 0
	s_waitcnt lgkmcnt(0)
	global_load_dwordx2 v[13:14], v10, s[36:37] offset:40
	global_load_dwordx4 v[0:3], v10, s[36:37]
	v_readfirstlane_b32 s6, v11
	v_readfirstlane_b32 s7, v12
	s_mov_b64 s[10:11], exec
	s_waitcnt vmcnt(1)
	v_readfirstlane_b32 s16, v13
	v_readfirstlane_b32 s17, v14
	s_and_b64 s[16:17], s[6:7], s[16:17]
	s_mul_i32 s15, s17, 24
	s_mul_hi_u32 s18, s16, 24
	s_mul_i32 s19, s16, 24
	s_add_i32 s15, s18, s15
	v_mov_b32_e32 v9, s15
	s_waitcnt vmcnt(0)
	v_add_co_u32_e32 v13, vcc, s19, v0
	v_addc_co_u32_e32 v14, vcc, v1, v9, vcc
	s_and_saveexec_b64 s[18:19], s[4:5]
	s_cbranch_execz .LBB5_10
; %bb.9:
	v_mov_b32_e32 v16, s11
	v_mov_b32_e32 v15, s10
	;; [unrolled: 1-line block ×4, first 2 shown]
	global_store_dwordx4 v[13:14], v[15:18], off offset:8
.LBB5_10:
	s_or_b64 exec, exec, s[18:19]
	s_lshl_b64 s[10:11], s[16:17], 12
	v_mov_b32_e32 v9, s11
	v_add_co_u32_e32 v2, vcc, s10, v2
	v_addc_co_u32_e32 v3, vcc, v3, v9, vcc
	s_mov_b32 s16, 0
	v_lshlrev_b32_e32 v50, 6, v51
	v_mov_b32_e32 v9, 33
	v_mov_b32_e32 v11, v10
	;; [unrolled: 1-line block ×3, first 2 shown]
	v_readfirstlane_b32 s10, v2
	v_readfirstlane_b32 s11, v3
	v_add_co_u32_e32 v15, vcc, v2, v50
	s_mov_b32 s17, s16
	s_mov_b32 s18, s16
	;; [unrolled: 1-line block ×3, first 2 shown]
	s_nop 0
	global_store_dwordx4 v50, v[9:12], s[10:11]
	v_addc_co_u32_e32 v16, vcc, 0, v3, vcc
	v_mov_b32_e32 v9, s16
	v_mov_b32_e32 v10, s17
	;; [unrolled: 1-line block ×4, first 2 shown]
	global_store_dwordx4 v50, v[9:12], s[10:11] offset:16
	global_store_dwordx4 v50, v[9:12], s[10:11] offset:32
	;; [unrolled: 1-line block ×3, first 2 shown]
	s_and_saveexec_b64 s[10:11], s[4:5]
	s_cbranch_execz .LBB5_18
; %bb.11:
	v_mov_b32_e32 v11, 0
	global_load_dwordx2 v[19:20], v11, s[36:37] offset:32 glc
	global_load_dwordx2 v[2:3], v11, s[36:37] offset:40
	v_mov_b32_e32 v17, s6
	v_mov_b32_e32 v18, s7
	s_waitcnt vmcnt(0)
	v_and_b32_e32 v2, s6, v2
	v_and_b32_e32 v3, s7, v3
	v_mul_lo_u32 v3, v3, 24
	v_mul_hi_u32 v9, v2, 24
	v_mul_lo_u32 v2, v2, 24
	v_add_u32_e32 v3, v9, v3
	v_add_co_u32_e32 v9, vcc, v0, v2
	v_addc_co_u32_e32 v10, vcc, v1, v3, vcc
	global_store_dwordx2 v[9:10], v[19:20], off
	s_waitcnt vmcnt(0)
	global_atomic_cmpswap_x2 v[2:3], v11, v[17:20], s[36:37] offset:32 glc
	s_waitcnt vmcnt(0)
	v_cmp_ne_u64_e32 vcc, v[2:3], v[19:20]
	s_and_saveexec_b64 s[16:17], vcc
	s_cbranch_execz .LBB5_14
; %bb.12:
	s_mov_b64 s[18:19], 0
.LBB5_13:                               ; =>This Inner Loop Header: Depth=1
	s_sleep 1
	global_store_dwordx2 v[9:10], v[2:3], off
	v_mov_b32_e32 v0, s6
	v_mov_b32_e32 v1, s7
	s_waitcnt vmcnt(0)
	global_atomic_cmpswap_x2 v[0:1], v11, v[0:3], s[36:37] offset:32 glc
	s_waitcnt vmcnt(0)
	v_cmp_eq_u64_e32 vcc, v[0:1], v[2:3]
	v_mov_b32_e32 v3, v1
	s_or_b64 s[18:19], vcc, s[18:19]
	v_mov_b32_e32 v2, v0
	s_andn2_b64 exec, exec, s[18:19]
	s_cbranch_execnz .LBB5_13
.LBB5_14:
	s_or_b64 exec, exec, s[16:17]
	v_mov_b32_e32 v3, 0
	global_load_dwordx2 v[0:1], v3, s[36:37] offset:16
	s_mov_b64 s[16:17], exec
	v_mbcnt_lo_u32_b32 v2, s16, 0
	v_mbcnt_hi_u32_b32 v2, s17, v2
	v_cmp_eq_u32_e32 vcc, 0, v2
	s_and_saveexec_b64 s[18:19], vcc
	s_cbranch_execz .LBB5_16
; %bb.15:
	s_bcnt1_i32_b64 s15, s[16:17]
	v_mov_b32_e32 v2, s15
	s_waitcnt vmcnt(0)
	global_atomic_add_x2 v[0:1], v[2:3], off offset:8
.LBB5_16:
	s_or_b64 exec, exec, s[18:19]
	s_waitcnt vmcnt(0)
	global_load_dwordx2 v[2:3], v[0:1], off offset:16
	s_waitcnt vmcnt(0)
	v_cmp_eq_u64_e32 vcc, 0, v[2:3]
	s_cbranch_vccnz .LBB5_18
; %bb.17:
	global_load_dword v0, v[0:1], off offset:24
	v_mov_b32_e32 v1, 0
	s_waitcnt vmcnt(0)
	global_store_dwordx2 v[2:3], v[0:1], off
	v_and_b32_e32 v0, 0xffffff, v0
	v_readfirstlane_b32 m0, v0
	s_sendmsg sendmsg(MSG_INTERRUPT)
.LBB5_18:
	s_or_b64 exec, exec, s[10:11]
	s_branch .LBB5_22
.LBB5_19:                               ;   in Loop: Header=BB5_22 Depth=1
	s_or_b64 exec, exec, s[10:11]
	v_readfirstlane_b32 s10, v0
	s_cmp_eq_u32 s10, 0
	s_cbranch_scc1 .LBB5_21
; %bb.20:                               ;   in Loop: Header=BB5_22 Depth=1
	s_sleep 1
	s_cbranch_execnz .LBB5_22
	s_branch .LBB5_24
.LBB5_21:
	s_branch .LBB5_24
.LBB5_22:                               ; =>This Inner Loop Header: Depth=1
	v_mov_b32_e32 v0, 1
	s_and_saveexec_b64 s[10:11], s[4:5]
	s_cbranch_execz .LBB5_19
; %bb.23:                               ;   in Loop: Header=BB5_22 Depth=1
	global_load_dword v0, v[13:14], off offset:20 glc
	s_waitcnt vmcnt(0)
	buffer_wbinvl1_vol
	v_and_b32_e32 v0, 1, v0
	s_branch .LBB5_19
.LBB5_24:
	global_load_dwordx2 v[9:10], v[15:16], off
	s_and_saveexec_b64 s[10:11], s[4:5]
	s_cbranch_execz .LBB5_27
; %bb.25:
	v_mov_b32_e32 v13, 0
	global_load_dwordx2 v[2:3], v13, s[36:37] offset:40
	global_load_dwordx2 v[14:15], v13, s[36:37] offset:24 glc
	global_load_dwordx2 v[11:12], v13, s[36:37]
	v_mov_b32_e32 v1, s7
	s_mov_b64 s[4:5], 0
	s_waitcnt vmcnt(2)
	v_add_co_u32_e32 v16, vcc, 1, v2
	v_addc_co_u32_e32 v17, vcc, 0, v3, vcc
	v_add_co_u32_e32 v0, vcc, s6, v16
	v_addc_co_u32_e32 v1, vcc, v17, v1, vcc
	v_cmp_eq_u64_e32 vcc, 0, v[0:1]
	v_cndmask_b32_e32 v1, v1, v17, vcc
	v_cndmask_b32_e32 v0, v0, v16, vcc
	v_and_b32_e32 v3, v1, v3
	v_and_b32_e32 v2, v0, v2
	v_mul_lo_u32 v3, v3, 24
	v_mul_hi_u32 v16, v2, 24
	v_mul_lo_u32 v17, v2, 24
	s_waitcnt vmcnt(1)
	v_mov_b32_e32 v2, v14
	v_add_u32_e32 v3, v16, v3
	s_waitcnt vmcnt(0)
	v_add_co_u32_e32 v11, vcc, v11, v17
	v_addc_co_u32_e32 v12, vcc, v12, v3, vcc
	global_store_dwordx2 v[11:12], v[14:15], off
	v_mov_b32_e32 v3, v15
	s_waitcnt vmcnt(0)
	global_atomic_cmpswap_x2 v[2:3], v13, v[0:3], s[36:37] offset:24 glc
	s_waitcnt vmcnt(0)
	v_cmp_ne_u64_e32 vcc, v[2:3], v[14:15]
	s_and_b64 exec, exec, vcc
	s_cbranch_execz .LBB5_27
.LBB5_26:                               ; =>This Inner Loop Header: Depth=1
	s_sleep 1
	global_store_dwordx2 v[11:12], v[2:3], off
	s_waitcnt vmcnt(0)
	global_atomic_cmpswap_x2 v[14:15], v13, v[0:3], s[36:37] offset:24 glc
	s_waitcnt vmcnt(0)
	v_cmp_eq_u64_e32 vcc, v[14:15], v[2:3]
	v_mov_b32_e32 v2, v14
	s_or_b64 s[4:5], vcc, s[4:5]
	v_mov_b32_e32 v3, v15
	s_andn2_b64 exec, exec, s[4:5]
	s_cbranch_execnz .LBB5_26
.LBB5_27:
	s_or_b64 exec, exec, s[10:11]
	s_getpc_b64 s[10:11]
	s_add_u32 s10, s10, .str.5@rel32@lo+4
	s_addc_u32 s11, s11, .str.5@rel32@hi+12
	s_cmp_lg_u64 s[10:11], 0
	s_cselect_b64 s[6:7], -1, 0
	s_and_b64 vcc, exec, s[6:7]
	s_cbranch_vccz .LBB5_112
; %bb.28:
	s_waitcnt vmcnt(0)
	v_and_b32_e32 v34, 2, v9
	v_mov_b32_e32 v31, 0
	v_and_b32_e32 v0, -3, v9
	v_mov_b32_e32 v1, v10
	s_mov_b64 s[16:17], 3
	v_mov_b32_e32 v13, 2
	v_mov_b32_e32 v14, 1
	s_branch .LBB5_30
.LBB5_29:                               ;   in Loop: Header=BB5_30 Depth=1
	s_or_b64 exec, exec, s[22:23]
	s_sub_u32 s16, s16, s18
	s_subb_u32 s17, s17, s19
	s_add_u32 s10, s10, s18
	s_addc_u32 s11, s11, s19
	s_cmp_lg_u64 s[16:17], 0
	s_cbranch_scc0 .LBB5_111
.LBB5_30:                               ; =>This Loop Header: Depth=1
                                        ;     Child Loop BB5_33 Depth 2
                                        ;     Child Loop BB5_40 Depth 2
	;; [unrolled: 1-line block ×11, first 2 shown]
	v_cmp_lt_u64_e64 s[4:5], s[16:17], 56
	v_cmp_gt_u64_e64 s[20:21], s[16:17], 7
	s_and_b64 s[4:5], s[4:5], exec
	s_cselect_b32 s19, s17, 0
	s_cselect_b32 s18, s16, 56
	s_and_b64 vcc, exec, s[20:21]
	s_cbranch_vccnz .LBB5_35
; %bb.31:                               ;   in Loop: Header=BB5_30 Depth=1
	s_waitcnt vmcnt(0)
	v_mov_b32_e32 v2, 0
	s_cmp_eq_u64 s[16:17], 0
	v_mov_b32_e32 v3, 0
	s_mov_b64 s[4:5], 0
	s_cbranch_scc1 .LBB5_34
; %bb.32:                               ;   in Loop: Header=BB5_30 Depth=1
	v_mov_b32_e32 v2, 0
	s_lshl_b64 s[20:21], s[18:19], 3
	s_mov_b64 s[22:23], 0
	v_mov_b32_e32 v3, 0
	s_mov_b64 s[24:25], s[10:11]
.LBB5_33:                               ;   Parent Loop BB5_30 Depth=1
                                        ; =>  This Inner Loop Header: Depth=2
	global_load_ubyte v11, v31, s[24:25]
	s_waitcnt vmcnt(0)
	v_and_b32_e32 v30, 0xffff, v11
	v_lshlrev_b64 v[11:12], s22, v[30:31]
	s_add_u32 s22, s22, 8
	s_addc_u32 s23, s23, 0
	s_add_u32 s24, s24, 1
	s_addc_u32 s25, s25, 0
	v_or_b32_e32 v2, v11, v2
	s_cmp_lg_u32 s20, s22
	v_or_b32_e32 v3, v12, v3
	s_cbranch_scc1 .LBB5_33
.LBB5_34:                               ;   in Loop: Header=BB5_30 Depth=1
	s_mov_b32 s15, 0
	s_andn2_b64 vcc, exec, s[4:5]
	s_mov_b64 s[4:5], s[10:11]
	s_cbranch_vccz .LBB5_36
	s_branch .LBB5_37
.LBB5_35:                               ;   in Loop: Header=BB5_30 Depth=1
                                        ; implicit-def: $vgpr2_vgpr3
                                        ; implicit-def: $sgpr15
	s_mov_b64 s[4:5], s[10:11]
.LBB5_36:                               ;   in Loop: Header=BB5_30 Depth=1
	global_load_dwordx2 v[2:3], v31, s[10:11]
	s_add_i32 s15, s18, -8
	s_add_u32 s4, s10, 8
	s_addc_u32 s5, s11, 0
.LBB5_37:                               ;   in Loop: Header=BB5_30 Depth=1
	s_cmp_gt_u32 s15, 7
	s_cbranch_scc1 .LBB5_41
; %bb.38:                               ;   in Loop: Header=BB5_30 Depth=1
	s_cmp_eq_u32 s15, 0
	s_cbranch_scc1 .LBB5_42
; %bb.39:                               ;   in Loop: Header=BB5_30 Depth=1
	v_mov_b32_e32 v15, 0
	s_mov_b64 s[20:21], 0
	v_mov_b32_e32 v16, 0
	s_mov_b64 s[22:23], 0
.LBB5_40:                               ;   Parent Loop BB5_30 Depth=1
                                        ; =>  This Inner Loop Header: Depth=2
	s_add_u32 s24, s4, s22
	s_addc_u32 s25, s5, s23
	global_load_ubyte v11, v31, s[24:25]
	s_add_u32 s22, s22, 1
	s_addc_u32 s23, s23, 0
	s_waitcnt vmcnt(0)
	v_and_b32_e32 v30, 0xffff, v11
	v_lshlrev_b64 v[11:12], s20, v[30:31]
	s_add_u32 s20, s20, 8
	s_addc_u32 s21, s21, 0
	v_or_b32_e32 v15, v11, v15
	s_cmp_lg_u32 s15, s22
	v_or_b32_e32 v16, v12, v16
	s_cbranch_scc1 .LBB5_40
	s_branch .LBB5_43
.LBB5_41:                               ;   in Loop: Header=BB5_30 Depth=1
                                        ; implicit-def: $vgpr15_vgpr16
                                        ; implicit-def: $sgpr24
	s_branch .LBB5_44
.LBB5_42:                               ;   in Loop: Header=BB5_30 Depth=1
	v_mov_b32_e32 v15, 0
	v_mov_b32_e32 v16, 0
.LBB5_43:                               ;   in Loop: Header=BB5_30 Depth=1
	s_mov_b32 s24, 0
	s_cbranch_execnz .LBB5_45
.LBB5_44:                               ;   in Loop: Header=BB5_30 Depth=1
	global_load_dwordx2 v[15:16], v31, s[4:5]
	s_add_i32 s24, s15, -8
	s_add_u32 s4, s4, 8
	s_addc_u32 s5, s5, 0
.LBB5_45:                               ;   in Loop: Header=BB5_30 Depth=1
	s_cmp_gt_u32 s24, 7
	s_cbranch_scc1 .LBB5_49
; %bb.46:                               ;   in Loop: Header=BB5_30 Depth=1
	s_cmp_eq_u32 s24, 0
	s_cbranch_scc1 .LBB5_50
; %bb.47:                               ;   in Loop: Header=BB5_30 Depth=1
	v_mov_b32_e32 v17, 0
	s_mov_b64 s[20:21], 0
	v_mov_b32_e32 v18, 0
	s_mov_b64 s[22:23], 0
.LBB5_48:                               ;   Parent Loop BB5_30 Depth=1
                                        ; =>  This Inner Loop Header: Depth=2
	s_add_u32 s26, s4, s22
	s_addc_u32 s27, s5, s23
	global_load_ubyte v11, v31, s[26:27]
	s_add_u32 s22, s22, 1
	s_addc_u32 s23, s23, 0
	s_waitcnt vmcnt(0)
	v_and_b32_e32 v30, 0xffff, v11
	v_lshlrev_b64 v[11:12], s20, v[30:31]
	s_add_u32 s20, s20, 8
	s_addc_u32 s21, s21, 0
	v_or_b32_e32 v17, v11, v17
	s_cmp_lg_u32 s24, s22
	v_or_b32_e32 v18, v12, v18
	s_cbranch_scc1 .LBB5_48
	s_branch .LBB5_51
.LBB5_49:                               ;   in Loop: Header=BB5_30 Depth=1
                                        ; implicit-def: $sgpr15
	s_branch .LBB5_52
.LBB5_50:                               ;   in Loop: Header=BB5_30 Depth=1
	v_mov_b32_e32 v17, 0
	v_mov_b32_e32 v18, 0
.LBB5_51:                               ;   in Loop: Header=BB5_30 Depth=1
	s_mov_b32 s15, 0
	s_cbranch_execnz .LBB5_53
.LBB5_52:                               ;   in Loop: Header=BB5_30 Depth=1
	global_load_dwordx2 v[17:18], v31, s[4:5]
	s_add_i32 s15, s24, -8
	s_add_u32 s4, s4, 8
	s_addc_u32 s5, s5, 0
.LBB5_53:                               ;   in Loop: Header=BB5_30 Depth=1
	s_cmp_gt_u32 s15, 7
	s_cbranch_scc1 .LBB5_57
; %bb.54:                               ;   in Loop: Header=BB5_30 Depth=1
	s_cmp_eq_u32 s15, 0
	s_cbranch_scc1 .LBB5_58
; %bb.55:                               ;   in Loop: Header=BB5_30 Depth=1
	v_mov_b32_e32 v19, 0
	s_mov_b64 s[20:21], 0
	v_mov_b32_e32 v20, 0
	s_mov_b64 s[22:23], 0
.LBB5_56:                               ;   Parent Loop BB5_30 Depth=1
                                        ; =>  This Inner Loop Header: Depth=2
	s_add_u32 s24, s4, s22
	s_addc_u32 s25, s5, s23
	global_load_ubyte v11, v31, s[24:25]
	s_add_u32 s22, s22, 1
	s_addc_u32 s23, s23, 0
	s_waitcnt vmcnt(0)
	v_and_b32_e32 v30, 0xffff, v11
	v_lshlrev_b64 v[11:12], s20, v[30:31]
	s_add_u32 s20, s20, 8
	s_addc_u32 s21, s21, 0
	v_or_b32_e32 v19, v11, v19
	s_cmp_lg_u32 s15, s22
	v_or_b32_e32 v20, v12, v20
	s_cbranch_scc1 .LBB5_56
	s_branch .LBB5_59
.LBB5_57:                               ;   in Loop: Header=BB5_30 Depth=1
                                        ; implicit-def: $vgpr19_vgpr20
                                        ; implicit-def: $sgpr24
	s_branch .LBB5_60
.LBB5_58:                               ;   in Loop: Header=BB5_30 Depth=1
	v_mov_b32_e32 v19, 0
	v_mov_b32_e32 v20, 0
.LBB5_59:                               ;   in Loop: Header=BB5_30 Depth=1
	s_mov_b32 s24, 0
	s_cbranch_execnz .LBB5_61
.LBB5_60:                               ;   in Loop: Header=BB5_30 Depth=1
	global_load_dwordx2 v[19:20], v31, s[4:5]
	s_add_i32 s24, s15, -8
	s_add_u32 s4, s4, 8
	s_addc_u32 s5, s5, 0
.LBB5_61:                               ;   in Loop: Header=BB5_30 Depth=1
	s_cmp_gt_u32 s24, 7
	s_cbranch_scc1 .LBB5_65
; %bb.62:                               ;   in Loop: Header=BB5_30 Depth=1
	s_cmp_eq_u32 s24, 0
	s_cbranch_scc1 .LBB5_66
; %bb.63:                               ;   in Loop: Header=BB5_30 Depth=1
	v_mov_b32_e32 v21, 0
	s_mov_b64 s[20:21], 0
	v_mov_b32_e32 v22, 0
	s_mov_b64 s[22:23], 0
.LBB5_64:                               ;   Parent Loop BB5_30 Depth=1
                                        ; =>  This Inner Loop Header: Depth=2
	s_add_u32 s26, s4, s22
	s_addc_u32 s27, s5, s23
	global_load_ubyte v11, v31, s[26:27]
	s_add_u32 s22, s22, 1
	s_addc_u32 s23, s23, 0
	s_waitcnt vmcnt(0)
	v_and_b32_e32 v30, 0xffff, v11
	v_lshlrev_b64 v[11:12], s20, v[30:31]
	s_add_u32 s20, s20, 8
	s_addc_u32 s21, s21, 0
	v_or_b32_e32 v21, v11, v21
	s_cmp_lg_u32 s24, s22
	v_or_b32_e32 v22, v12, v22
	s_cbranch_scc1 .LBB5_64
	s_branch .LBB5_67
.LBB5_65:                               ;   in Loop: Header=BB5_30 Depth=1
                                        ; implicit-def: $sgpr15
	s_branch .LBB5_68
.LBB5_66:                               ;   in Loop: Header=BB5_30 Depth=1
	v_mov_b32_e32 v21, 0
	v_mov_b32_e32 v22, 0
.LBB5_67:                               ;   in Loop: Header=BB5_30 Depth=1
	s_mov_b32 s15, 0
	s_cbranch_execnz .LBB5_69
.LBB5_68:                               ;   in Loop: Header=BB5_30 Depth=1
	global_load_dwordx2 v[21:22], v31, s[4:5]
	s_add_i32 s15, s24, -8
	s_add_u32 s4, s4, 8
	s_addc_u32 s5, s5, 0
.LBB5_69:                               ;   in Loop: Header=BB5_30 Depth=1
	s_cmp_gt_u32 s15, 7
	s_cbranch_scc1 .LBB5_73
; %bb.70:                               ;   in Loop: Header=BB5_30 Depth=1
	s_cmp_eq_u32 s15, 0
	s_cbranch_scc1 .LBB5_74
; %bb.71:                               ;   in Loop: Header=BB5_30 Depth=1
	v_mov_b32_e32 v23, 0
	s_mov_b64 s[20:21], 0
	v_mov_b32_e32 v24, 0
	s_mov_b64 s[22:23], 0
.LBB5_72:                               ;   Parent Loop BB5_30 Depth=1
                                        ; =>  This Inner Loop Header: Depth=2
	s_add_u32 s24, s4, s22
	s_addc_u32 s25, s5, s23
	global_load_ubyte v11, v31, s[24:25]
	s_add_u32 s22, s22, 1
	s_addc_u32 s23, s23, 0
	s_waitcnt vmcnt(0)
	v_and_b32_e32 v30, 0xffff, v11
	v_lshlrev_b64 v[11:12], s20, v[30:31]
	s_add_u32 s20, s20, 8
	s_addc_u32 s21, s21, 0
	v_or_b32_e32 v23, v11, v23
	s_cmp_lg_u32 s15, s22
	v_or_b32_e32 v24, v12, v24
	s_cbranch_scc1 .LBB5_72
	s_branch .LBB5_75
.LBB5_73:                               ;   in Loop: Header=BB5_30 Depth=1
                                        ; implicit-def: $vgpr23_vgpr24
                                        ; implicit-def: $sgpr24
	s_branch .LBB5_76
.LBB5_74:                               ;   in Loop: Header=BB5_30 Depth=1
	v_mov_b32_e32 v23, 0
	v_mov_b32_e32 v24, 0
.LBB5_75:                               ;   in Loop: Header=BB5_30 Depth=1
	s_mov_b32 s24, 0
	s_cbranch_execnz .LBB5_77
.LBB5_76:                               ;   in Loop: Header=BB5_30 Depth=1
	global_load_dwordx2 v[23:24], v31, s[4:5]
	s_add_i32 s24, s15, -8
	s_add_u32 s4, s4, 8
	s_addc_u32 s5, s5, 0
.LBB5_77:                               ;   in Loop: Header=BB5_30 Depth=1
	s_cmp_gt_u32 s24, 7
	s_cbranch_scc1 .LBB5_81
; %bb.78:                               ;   in Loop: Header=BB5_30 Depth=1
	s_cmp_eq_u32 s24, 0
	s_cbranch_scc1 .LBB5_82
; %bb.79:                               ;   in Loop: Header=BB5_30 Depth=1
	v_mov_b32_e32 v25, 0
	s_mov_b64 s[20:21], 0
	v_mov_b32_e32 v26, 0
	s_mov_b64 s[22:23], s[4:5]
.LBB5_80:                               ;   Parent Loop BB5_30 Depth=1
                                        ; =>  This Inner Loop Header: Depth=2
	global_load_ubyte v11, v31, s[22:23]
	s_add_i32 s24, s24, -1
	s_waitcnt vmcnt(0)
	v_and_b32_e32 v30, 0xffff, v11
	v_lshlrev_b64 v[11:12], s20, v[30:31]
	s_add_u32 s20, s20, 8
	s_addc_u32 s21, s21, 0
	s_add_u32 s22, s22, 1
	s_addc_u32 s23, s23, 0
	v_or_b32_e32 v25, v11, v25
	s_cmp_lg_u32 s24, 0
	v_or_b32_e32 v26, v12, v26
	s_cbranch_scc1 .LBB5_80
	s_branch .LBB5_83
.LBB5_81:                               ;   in Loop: Header=BB5_30 Depth=1
	s_branch .LBB5_84
.LBB5_82:                               ;   in Loop: Header=BB5_30 Depth=1
	v_mov_b32_e32 v25, 0
	v_mov_b32_e32 v26, 0
.LBB5_83:                               ;   in Loop: Header=BB5_30 Depth=1
	s_cbranch_execnz .LBB5_85
.LBB5_84:                               ;   in Loop: Header=BB5_30 Depth=1
	global_load_dwordx2 v[25:26], v31, s[4:5]
.LBB5_85:                               ;   in Loop: Header=BB5_30 Depth=1
	v_readfirstlane_b32 s4, v51
	v_mov_b32_e32 v11, 0
	v_mov_b32_e32 v12, 0
	v_cmp_eq_u32_e64 s[4:5], s4, v51
	s_and_saveexec_b64 s[20:21], s[4:5]
	s_cbranch_execz .LBB5_91
; %bb.86:                               ;   in Loop: Header=BB5_30 Depth=1
	global_load_dwordx2 v[29:30], v31, s[36:37] offset:24 glc
	s_waitcnt vmcnt(0)
	buffer_wbinvl1_vol
	global_load_dwordx2 v[11:12], v31, s[36:37] offset:40
	global_load_dwordx2 v[27:28], v31, s[36:37]
	s_waitcnt vmcnt(1)
	v_and_b32_e32 v11, v11, v29
	v_and_b32_e32 v12, v12, v30
	v_mul_lo_u32 v12, v12, 24
	v_mul_hi_u32 v32, v11, 24
	v_mul_lo_u32 v11, v11, 24
	v_add_u32_e32 v12, v32, v12
	s_waitcnt vmcnt(0)
	v_add_co_u32_e32 v11, vcc, v27, v11
	v_addc_co_u32_e32 v12, vcc, v28, v12, vcc
	global_load_dwordx2 v[27:28], v[11:12], off glc
	s_waitcnt vmcnt(0)
	global_atomic_cmpswap_x2 v[11:12], v31, v[27:30], s[36:37] offset:24 glc
	s_waitcnt vmcnt(0)
	buffer_wbinvl1_vol
	v_cmp_ne_u64_e32 vcc, v[11:12], v[29:30]
	s_and_saveexec_b64 s[22:23], vcc
	s_cbranch_execz .LBB5_90
; %bb.87:                               ;   in Loop: Header=BB5_30 Depth=1
	s_mov_b64 s[24:25], 0
.LBB5_88:                               ;   Parent Loop BB5_30 Depth=1
                                        ; =>  This Inner Loop Header: Depth=2
	s_sleep 1
	global_load_dwordx2 v[27:28], v31, s[36:37] offset:40
	global_load_dwordx2 v[32:33], v31, s[36:37]
	v_mov_b32_e32 v30, v12
	v_mov_b32_e32 v29, v11
	s_waitcnt vmcnt(1)
	v_and_b32_e32 v11, v27, v29
	s_waitcnt vmcnt(0)
	v_mad_u64_u32 v[11:12], s[26:27], v11, 24, v[32:33]
	v_and_b32_e32 v27, v28, v30
	v_mad_u64_u32 v[27:28], s[26:27], v27, 24, v[12:13]
	v_mov_b32_e32 v12, v27
	global_load_dwordx2 v[27:28], v[11:12], off glc
	s_waitcnt vmcnt(0)
	global_atomic_cmpswap_x2 v[11:12], v31, v[27:30], s[36:37] offset:24 glc
	s_waitcnt vmcnt(0)
	buffer_wbinvl1_vol
	v_cmp_eq_u64_e32 vcc, v[11:12], v[29:30]
	s_or_b64 s[24:25], vcc, s[24:25]
	s_andn2_b64 exec, exec, s[24:25]
	s_cbranch_execnz .LBB5_88
; %bb.89:                               ;   in Loop: Header=BB5_30 Depth=1
	s_or_b64 exec, exec, s[24:25]
.LBB5_90:                               ;   in Loop: Header=BB5_30 Depth=1
	s_or_b64 exec, exec, s[22:23]
.LBB5_91:                               ;   in Loop: Header=BB5_30 Depth=1
	s_or_b64 exec, exec, s[20:21]
	global_load_dwordx2 v[32:33], v31, s[36:37] offset:40
	global_load_dwordx4 v[27:30], v31, s[36:37]
	v_readfirstlane_b32 s20, v11
	v_readfirstlane_b32 s21, v12
	s_mov_b64 s[22:23], exec
	s_waitcnt vmcnt(1)
	v_readfirstlane_b32 s24, v32
	v_readfirstlane_b32 s25, v33
	s_and_b64 s[24:25], s[20:21], s[24:25]
	s_mul_i32 s15, s25, 24
	s_mul_hi_u32 s26, s24, 24
	s_mul_i32 s27, s24, 24
	s_add_i32 s15, s26, s15
	v_mov_b32_e32 v11, s15
	s_waitcnt vmcnt(0)
	v_add_co_u32_e32 v32, vcc, s27, v27
	v_addc_co_u32_e32 v33, vcc, v28, v11, vcc
	s_and_saveexec_b64 s[26:27], s[4:5]
	s_cbranch_execz .LBB5_93
; %bb.92:                               ;   in Loop: Header=BB5_30 Depth=1
	v_mov_b32_e32 v11, s22
	v_mov_b32_e32 v12, s23
	global_store_dwordx4 v[32:33], v[11:14], off offset:8
.LBB5_93:                               ;   in Loop: Header=BB5_30 Depth=1
	s_or_b64 exec, exec, s[26:27]
	s_lshl_b64 s[22:23], s[24:25], 12
	v_mov_b32_e32 v11, s23
	v_add_co_u32_e32 v29, vcc, s22, v29
	v_addc_co_u32_e32 v35, vcc, v30, v11, vcc
	v_cmp_gt_u64_e64 vcc, s[16:17], 56
	v_or_b32_e32 v12, v0, v34
	s_lshl_b32 s15, s18, 2
	v_cndmask_b32_e32 v0, v12, v0, vcc
	s_add_i32 s15, s15, 28
	v_or_b32_e32 v11, 0, v1
	s_and_b32 s15, s15, 0x1e0
	v_and_b32_e32 v0, 0xffffff1f, v0
	v_cndmask_b32_e32 v1, v11, v1, vcc
	v_or_b32_e32 v0, s15, v0
	v_readfirstlane_b32 s22, v29
	v_readfirstlane_b32 s23, v35
	s_nop 4
	global_store_dwordx4 v50, v[0:3], s[22:23]
	global_store_dwordx4 v50, v[15:18], s[22:23] offset:16
	global_store_dwordx4 v50, v[19:22], s[22:23] offset:32
	;; [unrolled: 1-line block ×3, first 2 shown]
	s_and_saveexec_b64 s[22:23], s[4:5]
	s_cbranch_execz .LBB5_101
; %bb.94:                               ;   in Loop: Header=BB5_30 Depth=1
	global_load_dwordx2 v[17:18], v31, s[36:37] offset:32 glc
	global_load_dwordx2 v[0:1], v31, s[36:37] offset:40
	v_mov_b32_e32 v15, s20
	v_mov_b32_e32 v16, s21
	s_waitcnt vmcnt(0)
	v_readfirstlane_b32 s24, v0
	v_readfirstlane_b32 s25, v1
	s_and_b64 s[24:25], s[24:25], s[20:21]
	s_mul_i32 s15, s25, 24
	s_mul_hi_u32 s25, s24, 24
	s_mul_i32 s24, s24, 24
	s_add_i32 s15, s25, s15
	v_mov_b32_e32 v0, s15
	v_add_co_u32_e32 v11, vcc, s24, v27
	v_addc_co_u32_e32 v12, vcc, v28, v0, vcc
	global_store_dwordx2 v[11:12], v[17:18], off
	s_waitcnt vmcnt(0)
	global_atomic_cmpswap_x2 v[2:3], v31, v[15:18], s[36:37] offset:32 glc
	s_waitcnt vmcnt(0)
	v_cmp_ne_u64_e32 vcc, v[2:3], v[17:18]
	s_and_saveexec_b64 s[24:25], vcc
	s_cbranch_execz .LBB5_97
; %bb.95:                               ;   in Loop: Header=BB5_30 Depth=1
	s_mov_b64 s[26:27], 0
.LBB5_96:                               ;   Parent Loop BB5_30 Depth=1
                                        ; =>  This Inner Loop Header: Depth=2
	s_sleep 1
	global_store_dwordx2 v[11:12], v[2:3], off
	v_mov_b32_e32 v0, s20
	v_mov_b32_e32 v1, s21
	s_waitcnt vmcnt(0)
	global_atomic_cmpswap_x2 v[0:1], v31, v[0:3], s[36:37] offset:32 glc
	s_waitcnt vmcnt(0)
	v_cmp_eq_u64_e32 vcc, v[0:1], v[2:3]
	v_mov_b32_e32 v3, v1
	s_or_b64 s[26:27], vcc, s[26:27]
	v_mov_b32_e32 v2, v0
	s_andn2_b64 exec, exec, s[26:27]
	s_cbranch_execnz .LBB5_96
.LBB5_97:                               ;   in Loop: Header=BB5_30 Depth=1
	s_or_b64 exec, exec, s[24:25]
	global_load_dwordx2 v[0:1], v31, s[36:37] offset:16
	s_mov_b64 s[26:27], exec
	v_mbcnt_lo_u32_b32 v2, s26, 0
	v_mbcnt_hi_u32_b32 v2, s27, v2
	v_cmp_eq_u32_e32 vcc, 0, v2
	s_and_saveexec_b64 s[24:25], vcc
	s_cbranch_execz .LBB5_99
; %bb.98:                               ;   in Loop: Header=BB5_30 Depth=1
	s_bcnt1_i32_b64 s15, s[26:27]
	v_mov_b32_e32 v30, s15
	s_waitcnt vmcnt(0)
	global_atomic_add_x2 v[0:1], v[30:31], off offset:8
.LBB5_99:                               ;   in Loop: Header=BB5_30 Depth=1
	s_or_b64 exec, exec, s[24:25]
	s_waitcnt vmcnt(0)
	global_load_dwordx2 v[2:3], v[0:1], off offset:16
	s_waitcnt vmcnt(0)
	v_cmp_eq_u64_e32 vcc, 0, v[2:3]
	s_cbranch_vccnz .LBB5_101
; %bb.100:                              ;   in Loop: Header=BB5_30 Depth=1
	global_load_dword v30, v[0:1], off offset:24
	s_waitcnt vmcnt(0)
	v_and_b32_e32 v0, 0xffffff, v30
	v_readfirstlane_b32 m0, v0
	global_store_dwordx2 v[2:3], v[30:31], off
	s_sendmsg sendmsg(MSG_INTERRUPT)
.LBB5_101:                              ;   in Loop: Header=BB5_30 Depth=1
	s_or_b64 exec, exec, s[22:23]
	v_add_co_u32_e32 v0, vcc, v29, v50
	v_addc_co_u32_e32 v1, vcc, 0, v35, vcc
	s_branch .LBB5_105
.LBB5_102:                              ;   in Loop: Header=BB5_105 Depth=2
	s_or_b64 exec, exec, s[22:23]
	v_readfirstlane_b32 s15, v2
	s_cmp_eq_u32 s15, 0
	s_cbranch_scc1 .LBB5_104
; %bb.103:                              ;   in Loop: Header=BB5_105 Depth=2
	s_sleep 1
	s_cbranch_execnz .LBB5_105
	s_branch .LBB5_107
.LBB5_104:                              ;   in Loop: Header=BB5_30 Depth=1
	s_branch .LBB5_107
.LBB5_105:                              ;   Parent Loop BB5_30 Depth=1
                                        ; =>  This Inner Loop Header: Depth=2
	v_mov_b32_e32 v2, 1
	s_and_saveexec_b64 s[22:23], s[4:5]
	s_cbranch_execz .LBB5_102
; %bb.106:                              ;   in Loop: Header=BB5_105 Depth=2
	global_load_dword v2, v[32:33], off offset:20 glc
	s_waitcnt vmcnt(0)
	buffer_wbinvl1_vol
	v_and_b32_e32 v2, 1, v2
	s_branch .LBB5_102
.LBB5_107:                              ;   in Loop: Header=BB5_30 Depth=1
	global_load_dwordx4 v[0:3], v[0:1], off
	s_and_saveexec_b64 s[22:23], s[4:5]
	s_cbranch_execz .LBB5_29
; %bb.108:                              ;   in Loop: Header=BB5_30 Depth=1
	global_load_dwordx2 v[2:3], v31, s[36:37] offset:40
	global_load_dwordx2 v[11:12], v31, s[36:37] offset:24 glc
	global_load_dwordx2 v[18:19], v31, s[36:37]
	v_mov_b32_e32 v16, s21
	s_waitcnt vmcnt(2)
	v_add_co_u32_e32 v17, vcc, 1, v2
	v_addc_co_u32_e32 v20, vcc, 0, v3, vcc
	v_add_co_u32_e32 v15, vcc, s20, v17
	v_addc_co_u32_e32 v16, vcc, v20, v16, vcc
	v_cmp_eq_u64_e32 vcc, 0, v[15:16]
	v_cndmask_b32_e32 v16, v16, v20, vcc
	v_cndmask_b32_e32 v15, v15, v17, vcc
	v_and_b32_e32 v3, v16, v3
	v_and_b32_e32 v2, v15, v2
	v_mul_lo_u32 v3, v3, 24
	v_mul_hi_u32 v20, v2, 24
	v_mul_lo_u32 v2, v2, 24
	s_waitcnt vmcnt(1)
	v_mov_b32_e32 v17, v11
	v_add_u32_e32 v3, v20, v3
	s_waitcnt vmcnt(0)
	v_add_co_u32_e32 v2, vcc, v18, v2
	v_addc_co_u32_e32 v3, vcc, v19, v3, vcc
	global_store_dwordx2 v[2:3], v[11:12], off
	v_mov_b32_e32 v18, v12
	s_waitcnt vmcnt(0)
	global_atomic_cmpswap_x2 v[17:18], v31, v[15:18], s[36:37] offset:24 glc
	s_waitcnt vmcnt(0)
	v_cmp_ne_u64_e32 vcc, v[17:18], v[11:12]
	s_and_b64 exec, exec, vcc
	s_cbranch_execz .LBB5_29
; %bb.109:                              ;   in Loop: Header=BB5_30 Depth=1
	s_mov_b64 s[4:5], 0
.LBB5_110:                              ;   Parent Loop BB5_30 Depth=1
                                        ; =>  This Inner Loop Header: Depth=2
	s_sleep 1
	global_store_dwordx2 v[2:3], v[17:18], off
	s_waitcnt vmcnt(0)
	global_atomic_cmpswap_x2 v[11:12], v31, v[15:18], s[36:37] offset:24 glc
	s_waitcnt vmcnt(0)
	v_cmp_eq_u64_e32 vcc, v[11:12], v[17:18]
	v_mov_b32_e32 v18, v12
	s_or_b64 s[4:5], vcc, s[4:5]
	v_mov_b32_e32 v17, v11
	s_andn2_b64 exec, exec, s[4:5]
	s_cbranch_execnz .LBB5_110
	s_branch .LBB5_29
.LBB5_111:
	s_branch .LBB5_139
.LBB5_112:
                                        ; implicit-def: $vgpr0_vgpr1
	s_cbranch_execz .LBB5_139
; %bb.113:
	v_readfirstlane_b32 s4, v51
	v_mov_b32_e32 v12, 0
	v_mov_b32_e32 v13, 0
	v_cmp_eq_u32_e64 s[4:5], s4, v51
	s_and_saveexec_b64 s[10:11], s[4:5]
	s_cbranch_execz .LBB5_119
; %bb.114:
	s_waitcnt vmcnt(0)
	v_mov_b32_e32 v0, 0
	global_load_dwordx2 v[14:15], v0, s[36:37] offset:24 glc
	s_waitcnt vmcnt(0)
	buffer_wbinvl1_vol
	global_load_dwordx2 v[1:2], v0, s[36:37] offset:40
	global_load_dwordx2 v[11:12], v0, s[36:37]
	s_waitcnt vmcnt(1)
	v_and_b32_e32 v1, v1, v14
	v_and_b32_e32 v2, v2, v15
	v_mul_lo_u32 v2, v2, 24
	v_mul_hi_u32 v3, v1, 24
	v_mul_lo_u32 v1, v1, 24
	v_add_u32_e32 v2, v3, v2
	s_waitcnt vmcnt(0)
	v_add_co_u32_e32 v1, vcc, v11, v1
	v_addc_co_u32_e32 v2, vcc, v12, v2, vcc
	global_load_dwordx2 v[12:13], v[1:2], off glc
	s_waitcnt vmcnt(0)
	global_atomic_cmpswap_x2 v[12:13], v0, v[12:15], s[36:37] offset:24 glc
	s_waitcnt vmcnt(0)
	buffer_wbinvl1_vol
	v_cmp_ne_u64_e32 vcc, v[12:13], v[14:15]
	s_and_saveexec_b64 s[16:17], vcc
	s_cbranch_execz .LBB5_118
; %bb.115:
	s_mov_b64 s[18:19], 0
.LBB5_116:                              ; =>This Inner Loop Header: Depth=1
	s_sleep 1
	global_load_dwordx2 v[1:2], v0, s[36:37] offset:40
	global_load_dwordx2 v[16:17], v0, s[36:37]
	v_mov_b32_e32 v15, v13
	v_mov_b32_e32 v14, v12
	s_waitcnt vmcnt(1)
	v_and_b32_e32 v1, v1, v14
	s_waitcnt vmcnt(0)
	v_mad_u64_u32 v[11:12], s[20:21], v1, 24, v[16:17]
	v_and_b32_e32 v2, v2, v15
	v_mov_b32_e32 v1, v12
	v_mad_u64_u32 v[1:2], s[20:21], v2, 24, v[1:2]
	v_mov_b32_e32 v12, v1
	global_load_dwordx2 v[12:13], v[11:12], off glc
	s_waitcnt vmcnt(0)
	global_atomic_cmpswap_x2 v[12:13], v0, v[12:15], s[36:37] offset:24 glc
	s_waitcnt vmcnt(0)
	buffer_wbinvl1_vol
	v_cmp_eq_u64_e32 vcc, v[12:13], v[14:15]
	s_or_b64 s[18:19], vcc, s[18:19]
	s_andn2_b64 exec, exec, s[18:19]
	s_cbranch_execnz .LBB5_116
; %bb.117:
	s_or_b64 exec, exec, s[18:19]
.LBB5_118:
	s_or_b64 exec, exec, s[16:17]
.LBB5_119:
	s_or_b64 exec, exec, s[10:11]
	v_mov_b32_e32 v11, 0
	global_load_dwordx2 v[14:15], v11, s[36:37] offset:40
	global_load_dwordx4 v[0:3], v11, s[36:37]
	v_readfirstlane_b32 s10, v12
	v_readfirstlane_b32 s11, v13
	s_mov_b64 s[16:17], exec
	s_waitcnt vmcnt(1)
	v_readfirstlane_b32 s18, v14
	v_readfirstlane_b32 s19, v15
	s_and_b64 s[18:19], s[10:11], s[18:19]
	s_mul_i32 s15, s19, 24
	s_mul_hi_u32 s20, s18, 24
	s_mul_i32 s21, s18, 24
	s_add_i32 s15, s20, s15
	v_mov_b32_e32 v12, s15
	s_waitcnt vmcnt(0)
	v_add_co_u32_e32 v13, vcc, s21, v0
	v_addc_co_u32_e32 v14, vcc, v1, v12, vcc
	s_and_saveexec_b64 s[20:21], s[4:5]
	s_cbranch_execz .LBB5_121
; %bb.120:
	v_mov_b32_e32 v15, s16
	v_mov_b32_e32 v16, s17
	;; [unrolled: 1-line block ×4, first 2 shown]
	global_store_dwordx4 v[13:14], v[15:18], off offset:8
.LBB5_121:
	s_or_b64 exec, exec, s[20:21]
	s_lshl_b64 s[16:17], s[18:19], 12
	v_mov_b32_e32 v12, s17
	v_add_co_u32_e32 v2, vcc, s16, v2
	v_addc_co_u32_e32 v3, vcc, v3, v12, vcc
	s_movk_i32 s15, 0xff1f
	v_and_or_b32 v9, v9, s15, 32
	s_mov_b32 s16, 0
	v_mov_b32_e32 v12, v11
	v_readfirstlane_b32 s20, v2
	v_readfirstlane_b32 s21, v3
	v_add_co_u32_e32 v15, vcc, v2, v50
	s_mov_b32 s17, s16
	s_mov_b32 s18, s16
	;; [unrolled: 1-line block ×3, first 2 shown]
	s_nop 0
	global_store_dwordx4 v50, v[9:12], s[20:21]
	v_addc_co_u32_e32 v16, vcc, 0, v3, vcc
	v_mov_b32_e32 v9, s16
	v_mov_b32_e32 v10, s17
	;; [unrolled: 1-line block ×4, first 2 shown]
	global_store_dwordx4 v50, v[9:12], s[20:21] offset:16
	global_store_dwordx4 v50, v[9:12], s[20:21] offset:32
	;; [unrolled: 1-line block ×3, first 2 shown]
	s_and_saveexec_b64 s[16:17], s[4:5]
	s_cbranch_execz .LBB5_129
; %bb.122:
	v_mov_b32_e32 v11, 0
	global_load_dwordx2 v[19:20], v11, s[36:37] offset:32 glc
	global_load_dwordx2 v[2:3], v11, s[36:37] offset:40
	v_mov_b32_e32 v17, s10
	v_mov_b32_e32 v18, s11
	s_waitcnt vmcnt(0)
	v_readfirstlane_b32 s18, v2
	v_readfirstlane_b32 s19, v3
	s_and_b64 s[18:19], s[18:19], s[10:11]
	s_mul_i32 s15, s19, 24
	s_mul_hi_u32 s19, s18, 24
	s_mul_i32 s18, s18, 24
	s_add_i32 s15, s19, s15
	v_mov_b32_e32 v2, s15
	v_add_co_u32_e32 v9, vcc, s18, v0
	v_addc_co_u32_e32 v10, vcc, v1, v2, vcc
	global_store_dwordx2 v[9:10], v[19:20], off
	s_waitcnt vmcnt(0)
	global_atomic_cmpswap_x2 v[2:3], v11, v[17:20], s[36:37] offset:32 glc
	s_waitcnt vmcnt(0)
	v_cmp_ne_u64_e32 vcc, v[2:3], v[19:20]
	s_and_saveexec_b64 s[18:19], vcc
	s_cbranch_execz .LBB5_125
; %bb.123:
	s_mov_b64 s[20:21], 0
.LBB5_124:                              ; =>This Inner Loop Header: Depth=1
	s_sleep 1
	global_store_dwordx2 v[9:10], v[2:3], off
	v_mov_b32_e32 v0, s10
	v_mov_b32_e32 v1, s11
	s_waitcnt vmcnt(0)
	global_atomic_cmpswap_x2 v[0:1], v11, v[0:3], s[36:37] offset:32 glc
	s_waitcnt vmcnt(0)
	v_cmp_eq_u64_e32 vcc, v[0:1], v[2:3]
	v_mov_b32_e32 v3, v1
	s_or_b64 s[20:21], vcc, s[20:21]
	v_mov_b32_e32 v2, v0
	s_andn2_b64 exec, exec, s[20:21]
	s_cbranch_execnz .LBB5_124
.LBB5_125:
	s_or_b64 exec, exec, s[18:19]
	v_mov_b32_e32 v3, 0
	global_load_dwordx2 v[0:1], v3, s[36:37] offset:16
	s_mov_b64 s[18:19], exec
	v_mbcnt_lo_u32_b32 v2, s18, 0
	v_mbcnt_hi_u32_b32 v2, s19, v2
	v_cmp_eq_u32_e32 vcc, 0, v2
	s_and_saveexec_b64 s[20:21], vcc
	s_cbranch_execz .LBB5_127
; %bb.126:
	s_bcnt1_i32_b64 s15, s[18:19]
	v_mov_b32_e32 v2, s15
	s_waitcnt vmcnt(0)
	global_atomic_add_x2 v[0:1], v[2:3], off offset:8
.LBB5_127:
	s_or_b64 exec, exec, s[20:21]
	s_waitcnt vmcnt(0)
	global_load_dwordx2 v[2:3], v[0:1], off offset:16
	s_waitcnt vmcnt(0)
	v_cmp_eq_u64_e32 vcc, 0, v[2:3]
	s_cbranch_vccnz .LBB5_129
; %bb.128:
	global_load_dword v0, v[0:1], off offset:24
	v_mov_b32_e32 v1, 0
	s_waitcnt vmcnt(0)
	global_store_dwordx2 v[2:3], v[0:1], off
	v_and_b32_e32 v0, 0xffffff, v0
	v_readfirstlane_b32 m0, v0
	s_sendmsg sendmsg(MSG_INTERRUPT)
.LBB5_129:
	s_or_b64 exec, exec, s[16:17]
	s_branch .LBB5_133
.LBB5_130:                              ;   in Loop: Header=BB5_133 Depth=1
	s_or_b64 exec, exec, s[16:17]
	v_readfirstlane_b32 s15, v0
	s_cmp_eq_u32 s15, 0
	s_cbranch_scc1 .LBB5_132
; %bb.131:                              ;   in Loop: Header=BB5_133 Depth=1
	s_sleep 1
	s_cbranch_execnz .LBB5_133
	s_branch .LBB5_135
.LBB5_132:
	s_branch .LBB5_135
.LBB5_133:                              ; =>This Inner Loop Header: Depth=1
	v_mov_b32_e32 v0, 1
	s_and_saveexec_b64 s[16:17], s[4:5]
	s_cbranch_execz .LBB5_130
; %bb.134:                              ;   in Loop: Header=BB5_133 Depth=1
	global_load_dword v0, v[13:14], off offset:20 glc
	s_waitcnt vmcnt(0)
	buffer_wbinvl1_vol
	v_and_b32_e32 v0, 1, v0
	s_branch .LBB5_130
.LBB5_135:
	global_load_dwordx2 v[0:1], v[15:16], off
	s_and_saveexec_b64 s[16:17], s[4:5]
	s_cbranch_execz .LBB5_138
; %bb.136:
	v_mov_b32_e32 v13, 0
	global_load_dwordx2 v[2:3], v13, s[36:37] offset:40
	global_load_dwordx2 v[14:15], v13, s[36:37] offset:24 glc
	global_load_dwordx2 v[16:17], v13, s[36:37]
	v_mov_b32_e32 v10, s11
	s_mov_b64 s[4:5], 0
	s_waitcnt vmcnt(2)
	v_add_co_u32_e32 v11, vcc, 1, v2
	v_addc_co_u32_e32 v12, vcc, 0, v3, vcc
	v_add_co_u32_e32 v9, vcc, s10, v11
	v_addc_co_u32_e32 v10, vcc, v12, v10, vcc
	v_cmp_eq_u64_e32 vcc, 0, v[9:10]
	v_cndmask_b32_e32 v10, v10, v12, vcc
	v_cndmask_b32_e32 v9, v9, v11, vcc
	v_and_b32_e32 v3, v10, v3
	v_and_b32_e32 v2, v9, v2
	v_mul_lo_u32 v3, v3, 24
	v_mul_hi_u32 v12, v2, 24
	v_mul_lo_u32 v2, v2, 24
	s_waitcnt vmcnt(1)
	v_mov_b32_e32 v11, v14
	v_add_u32_e32 v3, v12, v3
	s_waitcnt vmcnt(0)
	v_add_co_u32_e32 v2, vcc, v16, v2
	v_addc_co_u32_e32 v3, vcc, v17, v3, vcc
	global_store_dwordx2 v[2:3], v[14:15], off
	v_mov_b32_e32 v12, v15
	s_waitcnt vmcnt(0)
	global_atomic_cmpswap_x2 v[11:12], v13, v[9:12], s[36:37] offset:24 glc
	s_waitcnt vmcnt(0)
	v_cmp_ne_u64_e32 vcc, v[11:12], v[14:15]
	s_and_b64 exec, exec, vcc
	s_cbranch_execz .LBB5_138
.LBB5_137:                              ; =>This Inner Loop Header: Depth=1
	s_sleep 1
	global_store_dwordx2 v[2:3], v[11:12], off
	s_waitcnt vmcnt(0)
	global_atomic_cmpswap_x2 v[14:15], v13, v[9:12], s[36:37] offset:24 glc
	s_waitcnt vmcnt(0)
	v_cmp_eq_u64_e32 vcc, v[14:15], v[11:12]
	v_mov_b32_e32 v11, v14
	s_or_b64 s[4:5], vcc, s[4:5]
	v_mov_b32_e32 v12, v15
	s_andn2_b64 exec, exec, s[4:5]
	s_cbranch_execnz .LBB5_137
.LBB5_138:
	s_or_b64 exec, exec, s[16:17]
.LBB5_139:
	v_cmp_ne_u64_e32 vcc, 0, v[6:7]
	v_mov_b32_e32 v29, 0
	v_mov_b32_e32 v30, 0
	s_mov_b64 s[16:17], 0
	s_and_saveexec_b64 s[10:11], vcc
	s_cbranch_execnz .LBB5_142
; %bb.140:
	s_or_b64 exec, exec, s[10:11]
	s_and_saveexec_b64 s[4:5], vcc
	s_xor_b64 s[10:11], exec, s[4:5]
	s_cbranch_execnz .LBB5_145
.LBB5_141:
	s_andn2_saveexec_b64 s[10:11], s[10:11]
	s_cbranch_execnz .LBB5_230
	s_branch .LBB5_256
.LBB5_142:
	s_waitcnt vmcnt(0)
	v_add_co_u32_e64 v2, s[4:5], -1, v6
	v_addc_co_u32_e64 v3, s[4:5], -1, v7, s[4:5]
.LBB5_143:                              ; =>This Inner Loop Header: Depth=1
	flat_load_ubyte v11, v[2:3] offset:1
	v_add_co_u32_e64 v9, s[4:5], 1, v2
	v_addc_co_u32_e64 v10, s[4:5], 0, v3, s[4:5]
	v_mov_b32_e32 v2, v9
	v_mov_b32_e32 v3, v10
	s_waitcnt vmcnt(0) lgkmcnt(0)
	v_cmp_eq_u16_e64 s[4:5], 0, v11
	s_or_b64 s[16:17], s[4:5], s[16:17]
	s_andn2_b64 exec, exec, s[16:17]
	s_cbranch_execnz .LBB5_143
; %bb.144:
	s_or_b64 exec, exec, s[16:17]
	v_sub_co_u32_e64 v2, s[4:5], v9, v6
	v_subb_co_u32_e64 v3, s[4:5], v10, v7, s[4:5]
	v_add_co_u32_e64 v29, s[4:5], 1, v2
	v_addc_co_u32_e64 v30, s[4:5], 0, v3, s[4:5]
	s_or_b64 exec, exec, s[10:11]
	s_and_saveexec_b64 s[4:5], vcc
	s_xor_b64 s[10:11], exec, s[4:5]
	s_cbranch_execz .LBB5_141
.LBB5_145:
	s_waitcnt vmcnt(0)
	v_and_b32_e32 v0, -3, v0
	s_mov_b64 s[16:17], 0
	s_mov_b32 s15, 0
	v_mov_b32_e32 v32, 0
	s_movk_i32 s26, 0xff1f
	v_mov_b32_e32 v11, 2
	v_mov_b32_e32 v12, 1
	s_branch .LBB5_147
.LBB5_146:                              ;   in Loop: Header=BB5_147 Depth=1
	s_or_b64 exec, exec, s[20:21]
	v_sub_co_u32_e32 v29, vcc, v29, v33
	v_subb_co_u32_e32 v30, vcc, v30, v34, vcc
	v_cmp_eq_u64_e32 vcc, 0, v[29:30]
	s_or_b64 s[16:17], vcc, s[16:17]
	v_add_co_u32_e32 v6, vcc, v6, v33
	v_addc_co_u32_e32 v7, vcc, v7, v34, vcc
	s_andn2_b64 exec, exec, s[16:17]
	s_cbranch_execz .LBB5_229
.LBB5_147:                              ; =>This Loop Header: Depth=1
                                        ;     Child Loop BB5_150 Depth 2
                                        ;     Child Loop BB5_158 Depth 2
	;; [unrolled: 1-line block ×11, first 2 shown]
	v_cmp_gt_u64_e32 vcc, 56, v[29:30]
	v_cmp_gt_u64_e64 s[4:5], 8, v[29:30]
	v_cndmask_b32_e32 v34, 0, v30, vcc
	v_cndmask_b32_e32 v33, 56, v29, vcc
                                        ; implicit-def: $sgpr18
	s_and_saveexec_b64 s[20:21], s[4:5]
	s_xor_b64 s[4:5], exec, s[20:21]
	s_cbranch_execz .LBB5_153
; %bb.148:                              ;   in Loop: Header=BB5_147 Depth=1
	v_cmp_ne_u64_e32 vcc, 0, v[29:30]
	s_waitcnt vmcnt(0)
	v_mov_b32_e32 v2, 0
	v_mov_b32_e32 v3, 0
	s_mov_b64 s[20:21], 0
	s_and_saveexec_b64 s[18:19], vcc
	s_cbranch_execz .LBB5_152
; %bb.149:                              ;   in Loop: Header=BB5_147 Depth=1
	v_lshlrev_b64 v[9:10], 3, v[33:34]
	v_mov_b32_e32 v2, 0
	v_mov_b32_e32 v14, v7
	v_mov_b32_e32 v3, 0
	v_mov_b32_e32 v13, v6
	s_mov_b64 s[22:23], 0
.LBB5_150:                              ;   Parent Loop BB5_147 Depth=1
                                        ; =>  This Inner Loop Header: Depth=2
	flat_load_ubyte v10, v[13:14]
	v_mov_b32_e32 v16, s15
	v_add_co_u32_e32 v13, vcc, 1, v13
	v_addc_co_u32_e32 v14, vcc, 0, v14, vcc
	s_waitcnt vmcnt(0) lgkmcnt(0)
	v_and_b32_e32 v15, 0xffff, v10
	v_lshlrev_b64 v[15:16], s22, v[15:16]
	s_add_u32 s22, s22, 8
	s_addc_u32 s23, s23, 0
	v_cmp_eq_u32_e32 vcc, s22, v9
	v_or_b32_e32 v3, v16, v3
	s_or_b64 s[20:21], vcc, s[20:21]
	v_or_b32_e32 v2, v15, v2
	s_andn2_b64 exec, exec, s[20:21]
	s_cbranch_execnz .LBB5_150
; %bb.151:                              ;   in Loop: Header=BB5_147 Depth=1
	s_or_b64 exec, exec, s[20:21]
.LBB5_152:                              ;   in Loop: Header=BB5_147 Depth=1
	s_or_b64 exec, exec, s[18:19]
	s_mov_b32 s18, 0
.LBB5_153:                              ;   in Loop: Header=BB5_147 Depth=1
	s_or_saveexec_b64 s[4:5], s[4:5]
	v_mov_b32_e32 v10, v7
	v_mov_b32_e32 v15, s18
	;; [unrolled: 1-line block ×3, first 2 shown]
	s_xor_b64 exec, exec, s[4:5]
	s_cbranch_execz .LBB5_155
; %bb.154:                              ;   in Loop: Header=BB5_147 Depth=1
	s_waitcnt vmcnt(0)
	flat_load_dwordx2 v[2:3], v[6:7]
	v_add_u32_e32 v15, -8, v33
	s_waitcnt vmcnt(0) lgkmcnt(0)
	v_and_b32_e32 v9, 0xff, v3
	v_and_b32_e32 v10, 0xff00, v3
	v_and_b32_e32 v13, 0xff0000, v3
	v_and_b32_e32 v3, 0xff000000, v3
	v_or_b32_e32 v9, v9, v10
	v_or3_b32 v3, v9, v13, v3
	v_add_co_u32_e32 v9, vcc, 8, v6
	v_or3_b32 v2, v2, 0, 0
	v_addc_co_u32_e32 v10, vcc, 0, v7, vcc
.LBB5_155:                              ;   in Loop: Header=BB5_147 Depth=1
	s_or_b64 exec, exec, s[4:5]
	v_cmp_gt_u32_e32 vcc, 8, v15
                                        ; implicit-def: $vgpr13_vgpr14
                                        ; implicit-def: $sgpr18
	s_and_saveexec_b64 s[4:5], vcc
	s_xor_b64 s[4:5], exec, s[4:5]
	s_cbranch_execz .LBB5_161
; %bb.156:                              ;   in Loop: Header=BB5_147 Depth=1
	v_mov_b32_e32 v13, 0
	v_mov_b32_e32 v14, 0
	v_cmp_ne_u32_e32 vcc, 0, v15
	s_and_saveexec_b64 s[18:19], vcc
	s_cbranch_execz .LBB5_160
; %bb.157:                              ;   in Loop: Header=BB5_147 Depth=1
	v_mov_b32_e32 v13, 0
	s_mov_b64 s[20:21], 0
	v_mov_b32_e32 v14, 0
	s_mov_b64 s[22:23], 0
	s_mov_b64 s[24:25], 0
.LBB5_158:                              ;   Parent Loop BB5_147 Depth=1
                                        ; =>  This Inner Loop Header: Depth=2
	v_mov_b32_e32 v17, s25
	v_add_co_u32_e32 v16, vcc, s24, v9
	v_addc_co_u32_e32 v17, vcc, v10, v17, vcc
	flat_load_ubyte v16, v[16:17]
	s_add_u32 s24, s24, 1
	v_mov_b32_e32 v17, s15
	s_addc_u32 s25, s25, 0
	v_cmp_eq_u32_e32 vcc, s24, v15
	s_waitcnt vmcnt(0) lgkmcnt(0)
	v_and_b32_e32 v16, 0xffff, v16
	v_lshlrev_b64 v[16:17], s22, v[16:17]
	s_add_u32 s22, s22, 8
	s_addc_u32 s23, s23, 0
	v_or_b32_e32 v14, v17, v14
	s_or_b64 s[20:21], vcc, s[20:21]
	v_or_b32_e32 v13, v16, v13
	s_andn2_b64 exec, exec, s[20:21]
	s_cbranch_execnz .LBB5_158
; %bb.159:                              ;   in Loop: Header=BB5_147 Depth=1
	s_or_b64 exec, exec, s[20:21]
.LBB5_160:                              ;   in Loop: Header=BB5_147 Depth=1
	s_or_b64 exec, exec, s[18:19]
	s_mov_b32 s18, 0
                                        ; implicit-def: $vgpr15
.LBB5_161:                              ;   in Loop: Header=BB5_147 Depth=1
	s_or_saveexec_b64 s[4:5], s[4:5]
	v_mov_b32_e32 v17, s18
	s_xor_b64 exec, exec, s[4:5]
	s_cbranch_execz .LBB5_163
; %bb.162:                              ;   in Loop: Header=BB5_147 Depth=1
	flat_load_dwordx2 v[13:14], v[9:10]
	v_add_u32_e32 v17, -8, v15
	v_add_co_u32_e32 v9, vcc, 8, v9
	v_addc_co_u32_e32 v10, vcc, 0, v10, vcc
	s_waitcnt vmcnt(0) lgkmcnt(0)
	v_and_b32_e32 v15, 0xff, v14
	v_and_b32_e32 v16, 0xff00, v14
	;; [unrolled: 1-line block ×4, first 2 shown]
	v_or_b32_e32 v15, v15, v16
	v_or3_b32 v13, v13, 0, 0
	v_or3_b32 v14, v15, v18, v14
.LBB5_163:                              ;   in Loop: Header=BB5_147 Depth=1
	s_or_b64 exec, exec, s[4:5]
	v_cmp_gt_u32_e32 vcc, 8, v17
                                        ; implicit-def: $sgpr18
	s_and_saveexec_b64 s[4:5], vcc
	s_xor_b64 s[4:5], exec, s[4:5]
	s_cbranch_execz .LBB5_169
; %bb.164:                              ;   in Loop: Header=BB5_147 Depth=1
	v_mov_b32_e32 v15, 0
	v_mov_b32_e32 v16, 0
	v_cmp_ne_u32_e32 vcc, 0, v17
	s_and_saveexec_b64 s[18:19], vcc
	s_cbranch_execz .LBB5_168
; %bb.165:                              ;   in Loop: Header=BB5_147 Depth=1
	v_mov_b32_e32 v15, 0
	s_mov_b64 s[20:21], 0
	v_mov_b32_e32 v16, 0
	s_mov_b64 s[22:23], 0
	s_mov_b64 s[24:25], 0
.LBB5_166:                              ;   Parent Loop BB5_147 Depth=1
                                        ; =>  This Inner Loop Header: Depth=2
	v_mov_b32_e32 v19, s25
	v_add_co_u32_e32 v18, vcc, s24, v9
	v_addc_co_u32_e32 v19, vcc, v10, v19, vcc
	flat_load_ubyte v18, v[18:19]
	s_add_u32 s24, s24, 1
	v_mov_b32_e32 v19, s15
	s_addc_u32 s25, s25, 0
	v_cmp_eq_u32_e32 vcc, s24, v17
	s_waitcnt vmcnt(0) lgkmcnt(0)
	v_and_b32_e32 v18, 0xffff, v18
	v_lshlrev_b64 v[18:19], s22, v[18:19]
	s_add_u32 s22, s22, 8
	s_addc_u32 s23, s23, 0
	v_or_b32_e32 v16, v19, v16
	s_or_b64 s[20:21], vcc, s[20:21]
	v_or_b32_e32 v15, v18, v15
	s_andn2_b64 exec, exec, s[20:21]
	s_cbranch_execnz .LBB5_166
; %bb.167:                              ;   in Loop: Header=BB5_147 Depth=1
	s_or_b64 exec, exec, s[20:21]
.LBB5_168:                              ;   in Loop: Header=BB5_147 Depth=1
	s_or_b64 exec, exec, s[18:19]
	s_mov_b32 s18, 0
                                        ; implicit-def: $vgpr17
.LBB5_169:                              ;   in Loop: Header=BB5_147 Depth=1
	s_or_saveexec_b64 s[4:5], s[4:5]
	v_mov_b32_e32 v19, s18
	s_xor_b64 exec, exec, s[4:5]
	s_cbranch_execz .LBB5_171
; %bb.170:                              ;   in Loop: Header=BB5_147 Depth=1
	flat_load_dwordx2 v[15:16], v[9:10]
	v_add_u32_e32 v19, -8, v17
	v_add_co_u32_e32 v9, vcc, 8, v9
	v_addc_co_u32_e32 v10, vcc, 0, v10, vcc
	s_waitcnt vmcnt(0) lgkmcnt(0)
	v_and_b32_e32 v17, 0xff, v16
	v_and_b32_e32 v18, 0xff00, v16
	;; [unrolled: 1-line block ×4, first 2 shown]
	v_or_b32_e32 v17, v17, v18
	v_or3_b32 v15, v15, 0, 0
	v_or3_b32 v16, v17, v20, v16
.LBB5_171:                              ;   in Loop: Header=BB5_147 Depth=1
	s_or_b64 exec, exec, s[4:5]
	v_cmp_gt_u32_e32 vcc, 8, v19
                                        ; implicit-def: $vgpr17_vgpr18
                                        ; implicit-def: $sgpr18
	s_and_saveexec_b64 s[4:5], vcc
	s_xor_b64 s[4:5], exec, s[4:5]
	s_cbranch_execz .LBB5_177
; %bb.172:                              ;   in Loop: Header=BB5_147 Depth=1
	v_mov_b32_e32 v17, 0
	v_mov_b32_e32 v18, 0
	v_cmp_ne_u32_e32 vcc, 0, v19
	s_and_saveexec_b64 s[18:19], vcc
	s_cbranch_execz .LBB5_176
; %bb.173:                              ;   in Loop: Header=BB5_147 Depth=1
	v_mov_b32_e32 v17, 0
	s_mov_b64 s[20:21], 0
	v_mov_b32_e32 v18, 0
	s_mov_b64 s[22:23], 0
	s_mov_b64 s[24:25], 0
.LBB5_174:                              ;   Parent Loop BB5_147 Depth=1
                                        ; =>  This Inner Loop Header: Depth=2
	v_mov_b32_e32 v21, s25
	v_add_co_u32_e32 v20, vcc, s24, v9
	v_addc_co_u32_e32 v21, vcc, v10, v21, vcc
	flat_load_ubyte v20, v[20:21]
	s_add_u32 s24, s24, 1
	v_mov_b32_e32 v21, s15
	s_addc_u32 s25, s25, 0
	v_cmp_eq_u32_e32 vcc, s24, v19
	s_waitcnt vmcnt(0) lgkmcnt(0)
	v_and_b32_e32 v20, 0xffff, v20
	v_lshlrev_b64 v[20:21], s22, v[20:21]
	s_add_u32 s22, s22, 8
	s_addc_u32 s23, s23, 0
	v_or_b32_e32 v18, v21, v18
	s_or_b64 s[20:21], vcc, s[20:21]
	v_or_b32_e32 v17, v20, v17
	s_andn2_b64 exec, exec, s[20:21]
	s_cbranch_execnz .LBB5_174
; %bb.175:                              ;   in Loop: Header=BB5_147 Depth=1
	s_or_b64 exec, exec, s[20:21]
.LBB5_176:                              ;   in Loop: Header=BB5_147 Depth=1
	s_or_b64 exec, exec, s[18:19]
	s_mov_b32 s18, 0
                                        ; implicit-def: $vgpr19
.LBB5_177:                              ;   in Loop: Header=BB5_147 Depth=1
	s_or_saveexec_b64 s[4:5], s[4:5]
	v_mov_b32_e32 v21, s18
	s_xor_b64 exec, exec, s[4:5]
	s_cbranch_execz .LBB5_179
; %bb.178:                              ;   in Loop: Header=BB5_147 Depth=1
	flat_load_dwordx2 v[17:18], v[9:10]
	v_add_u32_e32 v21, -8, v19
	v_add_co_u32_e32 v9, vcc, 8, v9
	v_addc_co_u32_e32 v10, vcc, 0, v10, vcc
	s_waitcnt vmcnt(0) lgkmcnt(0)
	v_and_b32_e32 v19, 0xff, v18
	v_and_b32_e32 v20, 0xff00, v18
	;; [unrolled: 1-line block ×4, first 2 shown]
	v_or_b32_e32 v19, v19, v20
	v_or3_b32 v17, v17, 0, 0
	v_or3_b32 v18, v19, v22, v18
.LBB5_179:                              ;   in Loop: Header=BB5_147 Depth=1
	s_or_b64 exec, exec, s[4:5]
	v_cmp_gt_u32_e32 vcc, 8, v21
                                        ; implicit-def: $sgpr18
	s_and_saveexec_b64 s[4:5], vcc
	s_xor_b64 s[4:5], exec, s[4:5]
	s_cbranch_execz .LBB5_185
; %bb.180:                              ;   in Loop: Header=BB5_147 Depth=1
	v_mov_b32_e32 v19, 0
	v_mov_b32_e32 v20, 0
	v_cmp_ne_u32_e32 vcc, 0, v21
	s_and_saveexec_b64 s[18:19], vcc
	s_cbranch_execz .LBB5_184
; %bb.181:                              ;   in Loop: Header=BB5_147 Depth=1
	v_mov_b32_e32 v19, 0
	s_mov_b64 s[20:21], 0
	v_mov_b32_e32 v20, 0
	s_mov_b64 s[22:23], 0
	s_mov_b64 s[24:25], 0
.LBB5_182:                              ;   Parent Loop BB5_147 Depth=1
                                        ; =>  This Inner Loop Header: Depth=2
	v_mov_b32_e32 v23, s25
	v_add_co_u32_e32 v22, vcc, s24, v9
	v_addc_co_u32_e32 v23, vcc, v10, v23, vcc
	flat_load_ubyte v22, v[22:23]
	s_add_u32 s24, s24, 1
	v_mov_b32_e32 v23, s15
	s_addc_u32 s25, s25, 0
	v_cmp_eq_u32_e32 vcc, s24, v21
	s_waitcnt vmcnt(0) lgkmcnt(0)
	v_and_b32_e32 v22, 0xffff, v22
	v_lshlrev_b64 v[22:23], s22, v[22:23]
	s_add_u32 s22, s22, 8
	s_addc_u32 s23, s23, 0
	v_or_b32_e32 v20, v23, v20
	s_or_b64 s[20:21], vcc, s[20:21]
	v_or_b32_e32 v19, v22, v19
	s_andn2_b64 exec, exec, s[20:21]
	s_cbranch_execnz .LBB5_182
; %bb.183:                              ;   in Loop: Header=BB5_147 Depth=1
	s_or_b64 exec, exec, s[20:21]
.LBB5_184:                              ;   in Loop: Header=BB5_147 Depth=1
	s_or_b64 exec, exec, s[18:19]
	s_mov_b32 s18, 0
                                        ; implicit-def: $vgpr21
.LBB5_185:                              ;   in Loop: Header=BB5_147 Depth=1
	s_or_saveexec_b64 s[4:5], s[4:5]
	v_mov_b32_e32 v23, s18
	s_xor_b64 exec, exec, s[4:5]
	s_cbranch_execz .LBB5_187
; %bb.186:                              ;   in Loop: Header=BB5_147 Depth=1
	flat_load_dwordx2 v[19:20], v[9:10]
	v_add_u32_e32 v23, -8, v21
	v_add_co_u32_e32 v9, vcc, 8, v9
	v_addc_co_u32_e32 v10, vcc, 0, v10, vcc
	s_waitcnt vmcnt(0) lgkmcnt(0)
	v_and_b32_e32 v21, 0xff, v20
	v_and_b32_e32 v22, 0xff00, v20
	;; [unrolled: 1-line block ×4, first 2 shown]
	v_or_b32_e32 v21, v21, v22
	v_or3_b32 v19, v19, 0, 0
	v_or3_b32 v20, v21, v24, v20
.LBB5_187:                              ;   in Loop: Header=BB5_147 Depth=1
	s_or_b64 exec, exec, s[4:5]
	v_cmp_gt_u32_e32 vcc, 8, v23
                                        ; implicit-def: $vgpr21_vgpr22
                                        ; implicit-def: $sgpr18
	s_and_saveexec_b64 s[4:5], vcc
	s_xor_b64 s[4:5], exec, s[4:5]
	s_cbranch_execz .LBB5_193
; %bb.188:                              ;   in Loop: Header=BB5_147 Depth=1
	v_mov_b32_e32 v21, 0
	v_mov_b32_e32 v22, 0
	v_cmp_ne_u32_e32 vcc, 0, v23
	s_and_saveexec_b64 s[18:19], vcc
	s_cbranch_execz .LBB5_192
; %bb.189:                              ;   in Loop: Header=BB5_147 Depth=1
	v_mov_b32_e32 v21, 0
	s_mov_b64 s[20:21], 0
	v_mov_b32_e32 v22, 0
	s_mov_b64 s[22:23], 0
	s_mov_b64 s[24:25], 0
.LBB5_190:                              ;   Parent Loop BB5_147 Depth=1
                                        ; =>  This Inner Loop Header: Depth=2
	v_mov_b32_e32 v25, s25
	v_add_co_u32_e32 v24, vcc, s24, v9
	v_addc_co_u32_e32 v25, vcc, v10, v25, vcc
	flat_load_ubyte v24, v[24:25]
	s_add_u32 s24, s24, 1
	v_mov_b32_e32 v25, s15
	s_addc_u32 s25, s25, 0
	v_cmp_eq_u32_e32 vcc, s24, v23
	s_waitcnt vmcnt(0) lgkmcnt(0)
	v_and_b32_e32 v24, 0xffff, v24
	v_lshlrev_b64 v[24:25], s22, v[24:25]
	s_add_u32 s22, s22, 8
	s_addc_u32 s23, s23, 0
	v_or_b32_e32 v22, v25, v22
	s_or_b64 s[20:21], vcc, s[20:21]
	v_or_b32_e32 v21, v24, v21
	s_andn2_b64 exec, exec, s[20:21]
	s_cbranch_execnz .LBB5_190
; %bb.191:                              ;   in Loop: Header=BB5_147 Depth=1
	s_or_b64 exec, exec, s[20:21]
.LBB5_192:                              ;   in Loop: Header=BB5_147 Depth=1
	s_or_b64 exec, exec, s[18:19]
	s_mov_b32 s18, 0
                                        ; implicit-def: $vgpr23
.LBB5_193:                              ;   in Loop: Header=BB5_147 Depth=1
	s_or_saveexec_b64 s[4:5], s[4:5]
	v_mov_b32_e32 v25, s18
	s_xor_b64 exec, exec, s[4:5]
	s_cbranch_execz .LBB5_195
; %bb.194:                              ;   in Loop: Header=BB5_147 Depth=1
	flat_load_dwordx2 v[21:22], v[9:10]
	v_add_u32_e32 v25, -8, v23
	v_add_co_u32_e32 v9, vcc, 8, v9
	v_addc_co_u32_e32 v10, vcc, 0, v10, vcc
	s_waitcnt vmcnt(0) lgkmcnt(0)
	v_and_b32_e32 v23, 0xff, v22
	v_and_b32_e32 v24, 0xff00, v22
	;; [unrolled: 1-line block ×4, first 2 shown]
	v_or_b32_e32 v23, v23, v24
	v_or3_b32 v21, v21, 0, 0
	v_or3_b32 v22, v23, v26, v22
.LBB5_195:                              ;   in Loop: Header=BB5_147 Depth=1
	s_or_b64 exec, exec, s[4:5]
	v_cmp_gt_u32_e32 vcc, 8, v25
	s_and_saveexec_b64 s[4:5], vcc
	s_xor_b64 s[4:5], exec, s[4:5]
	s_cbranch_execz .LBB5_201
; %bb.196:                              ;   in Loop: Header=BB5_147 Depth=1
	v_mov_b32_e32 v23, 0
	v_mov_b32_e32 v24, 0
	v_cmp_ne_u32_e32 vcc, 0, v25
	s_and_saveexec_b64 s[18:19], vcc
	s_cbranch_execz .LBB5_200
; %bb.197:                              ;   in Loop: Header=BB5_147 Depth=1
	v_mov_b32_e32 v23, 0
	s_mov_b64 s[20:21], 0
	v_mov_b32_e32 v24, 0
	s_mov_b64 s[22:23], 0
.LBB5_198:                              ;   Parent Loop BB5_147 Depth=1
                                        ; =>  This Inner Loop Header: Depth=2
	flat_load_ubyte v26, v[9:10]
	v_mov_b32_e32 v27, s15
	v_add_co_u32_e32 v9, vcc, 1, v9
	v_add_u32_e32 v25, -1, v25
	v_addc_co_u32_e32 v10, vcc, 0, v10, vcc
	v_cmp_eq_u32_e32 vcc, 0, v25
	s_waitcnt vmcnt(0) lgkmcnt(0)
	v_and_b32_e32 v26, 0xffff, v26
	v_lshlrev_b64 v[26:27], s22, v[26:27]
	s_add_u32 s22, s22, 8
	s_addc_u32 s23, s23, 0
	v_or_b32_e32 v24, v27, v24
	s_or_b64 s[20:21], vcc, s[20:21]
	v_or_b32_e32 v23, v26, v23
	s_andn2_b64 exec, exec, s[20:21]
	s_cbranch_execnz .LBB5_198
; %bb.199:                              ;   in Loop: Header=BB5_147 Depth=1
	s_or_b64 exec, exec, s[20:21]
.LBB5_200:                              ;   in Loop: Header=BB5_147 Depth=1
	s_or_b64 exec, exec, s[18:19]
                                        ; implicit-def: $vgpr9_vgpr10
.LBB5_201:                              ;   in Loop: Header=BB5_147 Depth=1
	s_andn2_saveexec_b64 s[4:5], s[4:5]
	s_cbranch_execz .LBB5_203
; %bb.202:                              ;   in Loop: Header=BB5_147 Depth=1
	flat_load_dwordx2 v[9:10], v[9:10]
	s_waitcnt vmcnt(0) lgkmcnt(0)
	v_and_b32_e32 v23, 0xff, v10
	v_and_b32_e32 v24, 0xff00, v10
	;; [unrolled: 1-line block ×4, first 2 shown]
	v_or_b32_e32 v23, v23, v24
	v_or3_b32 v24, v23, v25, v10
	v_or3_b32 v23, v9, 0, 0
.LBB5_203:                              ;   in Loop: Header=BB5_147 Depth=1
	s_or_b64 exec, exec, s[4:5]
	v_readfirstlane_b32 s4, v51
	v_mov_b32_e32 v9, 0
	v_mov_b32_e32 v10, 0
	v_cmp_eq_u32_e64 s[4:5], s4, v51
	s_and_saveexec_b64 s[18:19], s[4:5]
	s_cbranch_execz .LBB5_209
; %bb.204:                              ;   in Loop: Header=BB5_147 Depth=1
	global_load_dwordx2 v[27:28], v32, s[36:37] offset:24 glc
	s_waitcnt vmcnt(0)
	buffer_wbinvl1_vol
	global_load_dwordx2 v[9:10], v32, s[36:37] offset:40
	global_load_dwordx2 v[25:26], v32, s[36:37]
	s_waitcnt vmcnt(1)
	v_and_b32_e32 v9, v9, v27
	v_and_b32_e32 v10, v10, v28
	v_mul_lo_u32 v10, v10, 24
	v_mul_hi_u32 v31, v9, 24
	v_mul_lo_u32 v9, v9, 24
	v_add_u32_e32 v10, v31, v10
	s_waitcnt vmcnt(0)
	v_add_co_u32_e32 v9, vcc, v25, v9
	v_addc_co_u32_e32 v10, vcc, v26, v10, vcc
	global_load_dwordx2 v[25:26], v[9:10], off glc
	s_waitcnt vmcnt(0)
	global_atomic_cmpswap_x2 v[9:10], v32, v[25:28], s[36:37] offset:24 glc
	s_waitcnt vmcnt(0)
	buffer_wbinvl1_vol
	v_cmp_ne_u64_e32 vcc, v[9:10], v[27:28]
	s_and_saveexec_b64 s[20:21], vcc
	s_cbranch_execz .LBB5_208
; %bb.205:                              ;   in Loop: Header=BB5_147 Depth=1
	s_mov_b64 s[22:23], 0
.LBB5_206:                              ;   Parent Loop BB5_147 Depth=1
                                        ; =>  This Inner Loop Header: Depth=2
	s_sleep 1
	global_load_dwordx2 v[25:26], v32, s[36:37] offset:40
	global_load_dwordx2 v[48:49], v32, s[36:37]
	v_mov_b32_e32 v28, v10
	v_mov_b32_e32 v27, v9
	s_waitcnt vmcnt(1)
	v_and_b32_e32 v9, v25, v27
	s_waitcnt vmcnt(0)
	v_mad_u64_u32 v[9:10], s[24:25], v9, 24, v[48:49]
	v_and_b32_e32 v25, v26, v28
	v_mad_u64_u32 v[25:26], s[24:25], v25, 24, v[10:11]
	v_mov_b32_e32 v10, v25
	global_load_dwordx2 v[25:26], v[9:10], off glc
	s_waitcnt vmcnt(0)
	global_atomic_cmpswap_x2 v[9:10], v32, v[25:28], s[36:37] offset:24 glc
	s_waitcnt vmcnt(0)
	buffer_wbinvl1_vol
	v_cmp_eq_u64_e32 vcc, v[9:10], v[27:28]
	s_or_b64 s[22:23], vcc, s[22:23]
	s_andn2_b64 exec, exec, s[22:23]
	s_cbranch_execnz .LBB5_206
; %bb.207:                              ;   in Loop: Header=BB5_147 Depth=1
	s_or_b64 exec, exec, s[22:23]
.LBB5_208:                              ;   in Loop: Header=BB5_147 Depth=1
	s_or_b64 exec, exec, s[20:21]
.LBB5_209:                              ;   in Loop: Header=BB5_147 Depth=1
	s_or_b64 exec, exec, s[18:19]
	global_load_dwordx2 v[48:49], v32, s[36:37] offset:40
	global_load_dwordx4 v[25:28], v32, s[36:37]
	v_readfirstlane_b32 s18, v9
	v_readfirstlane_b32 s19, v10
	s_mov_b64 s[20:21], exec
	s_waitcnt vmcnt(1)
	v_readfirstlane_b32 s22, v48
	v_readfirstlane_b32 s23, v49
	s_and_b64 s[22:23], s[18:19], s[22:23]
	s_mul_i32 s24, s23, 24
	s_mul_hi_u32 s25, s22, 24
	s_mul_i32 s27, s22, 24
	s_add_i32 s24, s25, s24
	v_mov_b32_e32 v9, s24
	s_waitcnt vmcnt(0)
	v_add_co_u32_e32 v48, vcc, s27, v25
	v_addc_co_u32_e32 v49, vcc, v26, v9, vcc
	s_and_saveexec_b64 s[24:25], s[4:5]
	s_cbranch_execz .LBB5_211
; %bb.210:                              ;   in Loop: Header=BB5_147 Depth=1
	v_mov_b32_e32 v9, s20
	v_mov_b32_e32 v10, s21
	global_store_dwordx4 v[48:49], v[9:12], off offset:8
.LBB5_211:                              ;   in Loop: Header=BB5_147 Depth=1
	s_or_b64 exec, exec, s[24:25]
	s_lshl_b64 s[20:21], s[22:23], 12
	v_mov_b32_e32 v9, s21
	v_add_co_u32_e32 v27, vcc, s20, v27
	v_addc_co_u32_e32 v28, vcc, v28, v9, vcc
	v_cmp_lt_u64_e32 vcc, 56, v[29:30]
	v_or_b32_e32 v9, 2, v0
	v_cndmask_b32_e32 v0, v9, v0, vcc
	v_lshl_add_u32 v9, v33, 2, 28
	v_and_b32_e32 v9, 0x1e0, v9
	v_and_or_b32 v0, v0, s26, v9
	v_readfirstlane_b32 s20, v27
	v_readfirstlane_b32 s21, v28
	s_nop 4
	global_store_dwordx4 v50, v[0:3], s[20:21]
	global_store_dwordx4 v50, v[13:16], s[20:21] offset:16
	global_store_dwordx4 v50, v[17:20], s[20:21] offset:32
	;; [unrolled: 1-line block ×3, first 2 shown]
	s_and_saveexec_b64 s[20:21], s[4:5]
	s_cbranch_execz .LBB5_219
; %bb.212:                              ;   in Loop: Header=BB5_147 Depth=1
	global_load_dwordx2 v[15:16], v32, s[36:37] offset:32 glc
	global_load_dwordx2 v[0:1], v32, s[36:37] offset:40
	v_mov_b32_e32 v13, s18
	v_mov_b32_e32 v14, s19
	s_waitcnt vmcnt(0)
	v_readfirstlane_b32 s22, v0
	v_readfirstlane_b32 s23, v1
	s_and_b64 s[22:23], s[22:23], s[18:19]
	s_mul_i32 s23, s23, 24
	s_mul_hi_u32 s24, s22, 24
	s_mul_i32 s22, s22, 24
	s_add_i32 s23, s24, s23
	v_mov_b32_e32 v0, s23
	v_add_co_u32_e32 v9, vcc, s22, v25
	v_addc_co_u32_e32 v10, vcc, v26, v0, vcc
	global_store_dwordx2 v[9:10], v[15:16], off
	s_waitcnt vmcnt(0)
	global_atomic_cmpswap_x2 v[2:3], v32, v[13:16], s[36:37] offset:32 glc
	s_waitcnt vmcnt(0)
	v_cmp_ne_u64_e32 vcc, v[2:3], v[15:16]
	s_and_saveexec_b64 s[22:23], vcc
	s_cbranch_execz .LBB5_215
; %bb.213:                              ;   in Loop: Header=BB5_147 Depth=1
	s_mov_b64 s[24:25], 0
.LBB5_214:                              ;   Parent Loop BB5_147 Depth=1
                                        ; =>  This Inner Loop Header: Depth=2
	s_sleep 1
	global_store_dwordx2 v[9:10], v[2:3], off
	v_mov_b32_e32 v0, s18
	v_mov_b32_e32 v1, s19
	s_waitcnt vmcnt(0)
	global_atomic_cmpswap_x2 v[0:1], v32, v[0:3], s[36:37] offset:32 glc
	s_waitcnt vmcnt(0)
	v_cmp_eq_u64_e32 vcc, v[0:1], v[2:3]
	v_mov_b32_e32 v3, v1
	s_or_b64 s[24:25], vcc, s[24:25]
	v_mov_b32_e32 v2, v0
	s_andn2_b64 exec, exec, s[24:25]
	s_cbranch_execnz .LBB5_214
.LBB5_215:                              ;   in Loop: Header=BB5_147 Depth=1
	s_or_b64 exec, exec, s[22:23]
	global_load_dwordx2 v[0:1], v32, s[36:37] offset:16
	s_mov_b64 s[24:25], exec
	v_mbcnt_lo_u32_b32 v2, s24, 0
	v_mbcnt_hi_u32_b32 v2, s25, v2
	v_cmp_eq_u32_e32 vcc, 0, v2
	s_and_saveexec_b64 s[22:23], vcc
	s_cbranch_execz .LBB5_217
; %bb.216:                              ;   in Loop: Header=BB5_147 Depth=1
	s_bcnt1_i32_b64 s24, s[24:25]
	v_mov_b32_e32 v31, s24
	s_waitcnt vmcnt(0)
	global_atomic_add_x2 v[0:1], v[31:32], off offset:8
.LBB5_217:                              ;   in Loop: Header=BB5_147 Depth=1
	s_or_b64 exec, exec, s[22:23]
	s_waitcnt vmcnt(0)
	global_load_dwordx2 v[2:3], v[0:1], off offset:16
	s_waitcnt vmcnt(0)
	v_cmp_eq_u64_e32 vcc, 0, v[2:3]
	s_cbranch_vccnz .LBB5_219
; %bb.218:                              ;   in Loop: Header=BB5_147 Depth=1
	global_load_dword v31, v[0:1], off offset:24
	s_waitcnt vmcnt(0)
	v_and_b32_e32 v0, 0xffffff, v31
	v_readfirstlane_b32 m0, v0
	global_store_dwordx2 v[2:3], v[31:32], off
	s_sendmsg sendmsg(MSG_INTERRUPT)
.LBB5_219:                              ;   in Loop: Header=BB5_147 Depth=1
	s_or_b64 exec, exec, s[20:21]
	v_add_co_u32_e32 v0, vcc, v27, v50
	v_addc_co_u32_e32 v1, vcc, 0, v28, vcc
	s_branch .LBB5_223
.LBB5_220:                              ;   in Loop: Header=BB5_223 Depth=2
	s_or_b64 exec, exec, s[20:21]
	v_readfirstlane_b32 s20, v2
	s_cmp_eq_u32 s20, 0
	s_cbranch_scc1 .LBB5_222
; %bb.221:                              ;   in Loop: Header=BB5_223 Depth=2
	s_sleep 1
	s_cbranch_execnz .LBB5_223
	s_branch .LBB5_225
.LBB5_222:                              ;   in Loop: Header=BB5_147 Depth=1
	s_branch .LBB5_225
.LBB5_223:                              ;   Parent Loop BB5_147 Depth=1
                                        ; =>  This Inner Loop Header: Depth=2
	v_mov_b32_e32 v2, 1
	s_and_saveexec_b64 s[20:21], s[4:5]
	s_cbranch_execz .LBB5_220
; %bb.224:                              ;   in Loop: Header=BB5_223 Depth=2
	global_load_dword v2, v[48:49], off offset:20 glc
	s_waitcnt vmcnt(0)
	buffer_wbinvl1_vol
	v_and_b32_e32 v2, 1, v2
	s_branch .LBB5_220
.LBB5_225:                              ;   in Loop: Header=BB5_147 Depth=1
	global_load_dwordx4 v[0:3], v[0:1], off
	s_and_saveexec_b64 s[20:21], s[4:5]
	s_cbranch_execz .LBB5_146
; %bb.226:                              ;   in Loop: Header=BB5_147 Depth=1
	global_load_dwordx2 v[2:3], v32, s[36:37] offset:40
	global_load_dwordx2 v[9:10], v32, s[36:37] offset:24 glc
	global_load_dwordx2 v[16:17], v32, s[36:37]
	v_mov_b32_e32 v14, s19
	s_waitcnt vmcnt(2)
	v_add_co_u32_e32 v15, vcc, 1, v2
	v_addc_co_u32_e32 v18, vcc, 0, v3, vcc
	v_add_co_u32_e32 v13, vcc, s18, v15
	v_addc_co_u32_e32 v14, vcc, v18, v14, vcc
	v_cmp_eq_u64_e32 vcc, 0, v[13:14]
	v_cndmask_b32_e32 v14, v14, v18, vcc
	v_cndmask_b32_e32 v13, v13, v15, vcc
	v_and_b32_e32 v3, v14, v3
	v_and_b32_e32 v2, v13, v2
	v_mul_lo_u32 v3, v3, 24
	v_mul_hi_u32 v18, v2, 24
	v_mul_lo_u32 v2, v2, 24
	s_waitcnt vmcnt(1)
	v_mov_b32_e32 v15, v9
	v_add_u32_e32 v3, v18, v3
	s_waitcnt vmcnt(0)
	v_add_co_u32_e32 v2, vcc, v16, v2
	v_addc_co_u32_e32 v3, vcc, v17, v3, vcc
	global_store_dwordx2 v[2:3], v[9:10], off
	v_mov_b32_e32 v16, v10
	s_waitcnt vmcnt(0)
	global_atomic_cmpswap_x2 v[15:16], v32, v[13:16], s[36:37] offset:24 glc
	s_waitcnt vmcnt(0)
	v_cmp_ne_u64_e32 vcc, v[15:16], v[9:10]
	s_and_b64 exec, exec, vcc
	s_cbranch_execz .LBB5_146
; %bb.227:                              ;   in Loop: Header=BB5_147 Depth=1
	s_mov_b64 s[4:5], 0
.LBB5_228:                              ;   Parent Loop BB5_147 Depth=1
                                        ; =>  This Inner Loop Header: Depth=2
	s_sleep 1
	global_store_dwordx2 v[2:3], v[15:16], off
	s_waitcnt vmcnt(0)
	global_atomic_cmpswap_x2 v[9:10], v32, v[13:16], s[36:37] offset:24 glc
	s_waitcnt vmcnt(0)
	v_cmp_eq_u64_e32 vcc, v[9:10], v[15:16]
	v_mov_b32_e32 v16, v10
	s_or_b64 s[4:5], vcc, s[4:5]
	v_mov_b32_e32 v15, v9
	s_andn2_b64 exec, exec, s[4:5]
	s_cbranch_execnz .LBB5_228
	s_branch .LBB5_146
.LBB5_229:
	s_or_b64 exec, exec, s[16:17]
                                        ; implicit-def: $vgpr0_vgpr1
	s_andn2_saveexec_b64 s[10:11], s[10:11]
	s_cbranch_execz .LBB5_256
.LBB5_230:
	v_readfirstlane_b32 s4, v51
	v_mov_b32_e32 v6, 0
	v_mov_b32_e32 v7, 0
	v_cmp_eq_u32_e64 s[4:5], s4, v51
	s_and_saveexec_b64 s[16:17], s[4:5]
	s_cbranch_execz .LBB5_236
; %bb.231:
	s_waitcnt vmcnt(0)
	v_mov_b32_e32 v2, 0
	global_load_dwordx2 v[11:12], v2, s[36:37] offset:24 glc
	s_waitcnt vmcnt(0)
	buffer_wbinvl1_vol
	global_load_dwordx2 v[6:7], v2, s[36:37] offset:40
	global_load_dwordx2 v[9:10], v2, s[36:37]
	s_waitcnt vmcnt(1)
	v_and_b32_e32 v3, v6, v11
	v_and_b32_e32 v6, v7, v12
	v_mul_lo_u32 v6, v6, 24
	v_mul_hi_u32 v7, v3, 24
	v_mul_lo_u32 v3, v3, 24
	v_add_u32_e32 v7, v7, v6
	s_waitcnt vmcnt(0)
	v_add_co_u32_e32 v6, vcc, v9, v3
	v_addc_co_u32_e32 v7, vcc, v10, v7, vcc
	global_load_dwordx2 v[9:10], v[6:7], off glc
	s_waitcnt vmcnt(0)
	global_atomic_cmpswap_x2 v[6:7], v2, v[9:12], s[36:37] offset:24 glc
	s_waitcnt vmcnt(0)
	buffer_wbinvl1_vol
	v_cmp_ne_u64_e32 vcc, v[6:7], v[11:12]
	s_and_saveexec_b64 s[18:19], vcc
	s_cbranch_execz .LBB5_235
; %bb.232:
	s_mov_b64 s[20:21], 0
.LBB5_233:                              ; =>This Inner Loop Header: Depth=1
	s_sleep 1
	global_load_dwordx2 v[9:10], v2, s[36:37] offset:40
	global_load_dwordx2 v[13:14], v2, s[36:37]
	v_mov_b32_e32 v12, v7
	v_mov_b32_e32 v11, v6
	s_waitcnt vmcnt(1)
	v_and_b32_e32 v3, v9, v11
	s_waitcnt vmcnt(0)
	v_mad_u64_u32 v[6:7], s[22:23], v3, 24, v[13:14]
	v_and_b32_e32 v9, v10, v12
	v_mov_b32_e32 v3, v7
	v_mad_u64_u32 v[9:10], s[22:23], v9, 24, v[3:4]
	v_mov_b32_e32 v7, v9
	global_load_dwordx2 v[9:10], v[6:7], off glc
	s_waitcnt vmcnt(0)
	global_atomic_cmpswap_x2 v[6:7], v2, v[9:12], s[36:37] offset:24 glc
	s_waitcnt vmcnt(0)
	buffer_wbinvl1_vol
	v_cmp_eq_u64_e32 vcc, v[6:7], v[11:12]
	s_or_b64 s[20:21], vcc, s[20:21]
	s_andn2_b64 exec, exec, s[20:21]
	s_cbranch_execnz .LBB5_233
; %bb.234:
	s_or_b64 exec, exec, s[20:21]
.LBB5_235:
	s_or_b64 exec, exec, s[18:19]
.LBB5_236:
	s_or_b64 exec, exec, s[16:17]
	s_waitcnt vmcnt(0)
	v_mov_b32_e32 v2, 0
	global_load_dwordx2 v[13:14], v2, s[36:37] offset:40
	global_load_dwordx4 v[9:12], v2, s[36:37]
	v_readfirstlane_b32 s16, v6
	v_readfirstlane_b32 s17, v7
	s_mov_b64 s[18:19], exec
	s_waitcnt vmcnt(1)
	v_readfirstlane_b32 s20, v13
	v_readfirstlane_b32 s21, v14
	s_and_b64 s[20:21], s[16:17], s[20:21]
	s_mul_i32 s15, s21, 24
	s_mul_hi_u32 s22, s20, 24
	s_mul_i32 s23, s20, 24
	s_add_i32 s15, s22, s15
	v_mov_b32_e32 v3, s15
	s_waitcnt vmcnt(0)
	v_add_co_u32_e32 v6, vcc, s23, v9
	v_addc_co_u32_e32 v7, vcc, v10, v3, vcc
	s_and_saveexec_b64 s[22:23], s[4:5]
	s_cbranch_execz .LBB5_238
; %bb.237:
	v_mov_b32_e32 v13, s18
	v_mov_b32_e32 v14, s19
	;; [unrolled: 1-line block ×4, first 2 shown]
	global_store_dwordx4 v[6:7], v[13:16], off offset:8
.LBB5_238:
	s_or_b64 exec, exec, s[22:23]
	s_lshl_b64 s[18:19], s[20:21], 12
	v_mov_b32_e32 v3, s19
	v_add_co_u32_e32 v11, vcc, s18, v11
	v_addc_co_u32_e32 v12, vcc, v12, v3, vcc
	s_movk_i32 s15, 0xff1d
	v_and_or_b32 v0, v0, s15, 34
	s_mov_b32 s20, 0
	v_mov_b32_e32 v3, v2
	v_readfirstlane_b32 s18, v11
	v_readfirstlane_b32 s19, v12
	s_mov_b32 s21, s20
	s_mov_b32 s22, s20
	;; [unrolled: 1-line block ×3, first 2 shown]
	s_nop 1
	global_store_dwordx4 v50, v[0:3], s[18:19]
	s_nop 0
	v_mov_b32_e32 v0, s20
	v_mov_b32_e32 v1, s21
	;; [unrolled: 1-line block ×4, first 2 shown]
	global_store_dwordx4 v50, v[0:3], s[18:19] offset:16
	global_store_dwordx4 v50, v[0:3], s[18:19] offset:32
	;; [unrolled: 1-line block ×3, first 2 shown]
	s_and_saveexec_b64 s[18:19], s[4:5]
	s_cbranch_execz .LBB5_246
; %bb.239:
	v_mov_b32_e32 v11, 0
	global_load_dwordx2 v[14:15], v11, s[36:37] offset:32 glc
	global_load_dwordx2 v[0:1], v11, s[36:37] offset:40
	v_mov_b32_e32 v12, s16
	v_mov_b32_e32 v13, s17
	s_waitcnt vmcnt(0)
	v_readfirstlane_b32 s20, v0
	v_readfirstlane_b32 s21, v1
	s_and_b64 s[20:21], s[20:21], s[16:17]
	s_mul_i32 s15, s21, 24
	s_mul_hi_u32 s21, s20, 24
	s_mul_i32 s20, s20, 24
	s_add_i32 s15, s21, s15
	v_mov_b32_e32 v0, s15
	v_add_co_u32_e32 v9, vcc, s20, v9
	v_addc_co_u32_e32 v10, vcc, v10, v0, vcc
	global_store_dwordx2 v[9:10], v[14:15], off
	s_waitcnt vmcnt(0)
	global_atomic_cmpswap_x2 v[2:3], v11, v[12:15], s[36:37] offset:32 glc
	s_waitcnt vmcnt(0)
	v_cmp_ne_u64_e32 vcc, v[2:3], v[14:15]
	s_and_saveexec_b64 s[20:21], vcc
	s_cbranch_execz .LBB5_242
; %bb.240:
	s_mov_b64 s[22:23], 0
.LBB5_241:                              ; =>This Inner Loop Header: Depth=1
	s_sleep 1
	global_store_dwordx2 v[9:10], v[2:3], off
	v_mov_b32_e32 v0, s16
	v_mov_b32_e32 v1, s17
	s_waitcnt vmcnt(0)
	global_atomic_cmpswap_x2 v[0:1], v11, v[0:3], s[36:37] offset:32 glc
	s_waitcnt vmcnt(0)
	v_cmp_eq_u64_e32 vcc, v[0:1], v[2:3]
	v_mov_b32_e32 v3, v1
	s_or_b64 s[22:23], vcc, s[22:23]
	v_mov_b32_e32 v2, v0
	s_andn2_b64 exec, exec, s[22:23]
	s_cbranch_execnz .LBB5_241
.LBB5_242:
	s_or_b64 exec, exec, s[20:21]
	v_mov_b32_e32 v3, 0
	global_load_dwordx2 v[0:1], v3, s[36:37] offset:16
	s_mov_b64 s[20:21], exec
	v_mbcnt_lo_u32_b32 v2, s20, 0
	v_mbcnt_hi_u32_b32 v2, s21, v2
	v_cmp_eq_u32_e32 vcc, 0, v2
	s_and_saveexec_b64 s[22:23], vcc
	s_cbranch_execz .LBB5_244
; %bb.243:
	s_bcnt1_i32_b64 s15, s[20:21]
	v_mov_b32_e32 v2, s15
	s_waitcnt vmcnt(0)
	global_atomic_add_x2 v[0:1], v[2:3], off offset:8
.LBB5_244:
	s_or_b64 exec, exec, s[22:23]
	s_waitcnt vmcnt(0)
	global_load_dwordx2 v[2:3], v[0:1], off offset:16
	s_waitcnt vmcnt(0)
	v_cmp_eq_u64_e32 vcc, 0, v[2:3]
	s_cbranch_vccnz .LBB5_246
; %bb.245:
	global_load_dword v0, v[0:1], off offset:24
	v_mov_b32_e32 v1, 0
	s_waitcnt vmcnt(0)
	global_store_dwordx2 v[2:3], v[0:1], off
	v_and_b32_e32 v0, 0xffffff, v0
	v_readfirstlane_b32 m0, v0
	s_sendmsg sendmsg(MSG_INTERRUPT)
.LBB5_246:
	s_or_b64 exec, exec, s[18:19]
	s_branch .LBB5_250
.LBB5_247:                              ;   in Loop: Header=BB5_250 Depth=1
	s_or_b64 exec, exec, s[18:19]
	v_readfirstlane_b32 s15, v0
	s_cmp_eq_u32 s15, 0
	s_cbranch_scc1 .LBB5_249
; %bb.248:                              ;   in Loop: Header=BB5_250 Depth=1
	s_sleep 1
	s_cbranch_execnz .LBB5_250
	s_branch .LBB5_252
.LBB5_249:
	s_branch .LBB5_252
.LBB5_250:                              ; =>This Inner Loop Header: Depth=1
	v_mov_b32_e32 v0, 1
	s_and_saveexec_b64 s[18:19], s[4:5]
	s_cbranch_execz .LBB5_247
; %bb.251:                              ;   in Loop: Header=BB5_250 Depth=1
	global_load_dword v0, v[6:7], off offset:20 glc
	s_waitcnt vmcnt(0)
	buffer_wbinvl1_vol
	v_and_b32_e32 v0, 1, v0
	s_branch .LBB5_247
.LBB5_252:
	s_and_saveexec_b64 s[18:19], s[4:5]
	s_cbranch_execz .LBB5_255
; %bb.253:
	v_mov_b32_e32 v9, 0
	global_load_dwordx2 v[2:3], v9, s[36:37] offset:40
	global_load_dwordx2 v[10:11], v9, s[36:37] offset:24 glc
	global_load_dwordx2 v[6:7], v9, s[36:37]
	v_mov_b32_e32 v1, s17
	s_mov_b64 s[4:5], 0
	s_waitcnt vmcnt(2)
	v_add_co_u32_e32 v12, vcc, 1, v2
	v_addc_co_u32_e32 v13, vcc, 0, v3, vcc
	v_add_co_u32_e32 v0, vcc, s16, v12
	v_addc_co_u32_e32 v1, vcc, v13, v1, vcc
	v_cmp_eq_u64_e32 vcc, 0, v[0:1]
	v_cndmask_b32_e32 v1, v1, v13, vcc
	v_cndmask_b32_e32 v0, v0, v12, vcc
	v_and_b32_e32 v3, v1, v3
	v_and_b32_e32 v2, v0, v2
	v_mul_lo_u32 v3, v3, 24
	v_mul_hi_u32 v12, v2, 24
	v_mul_lo_u32 v13, v2, 24
	s_waitcnt vmcnt(1)
	v_mov_b32_e32 v2, v10
	v_add_u32_e32 v3, v12, v3
	s_waitcnt vmcnt(0)
	v_add_co_u32_e32 v6, vcc, v6, v13
	v_addc_co_u32_e32 v7, vcc, v7, v3, vcc
	global_store_dwordx2 v[6:7], v[10:11], off
	v_mov_b32_e32 v3, v11
	s_waitcnt vmcnt(0)
	global_atomic_cmpswap_x2 v[2:3], v9, v[0:3], s[36:37] offset:24 glc
	s_waitcnt vmcnt(0)
	v_cmp_ne_u64_e32 vcc, v[2:3], v[10:11]
	s_and_b64 exec, exec, vcc
	s_cbranch_execz .LBB5_255
.LBB5_254:                              ; =>This Inner Loop Header: Depth=1
	s_sleep 1
	global_store_dwordx2 v[6:7], v[2:3], off
	s_waitcnt vmcnt(0)
	global_atomic_cmpswap_x2 v[10:11], v9, v[0:3], s[36:37] offset:24 glc
	s_waitcnt vmcnt(0)
	v_cmp_eq_u64_e32 vcc, v[10:11], v[2:3]
	v_mov_b32_e32 v2, v10
	s_or_b64 s[4:5], vcc, s[4:5]
	v_mov_b32_e32 v3, v11
	s_andn2_b64 exec, exec, s[4:5]
	s_cbranch_execnz .LBB5_254
.LBB5_255:
	s_or_b64 exec, exec, s[18:19]
.LBB5_256:
	s_or_b64 exec, exec, s[10:11]
	v_readfirstlane_b32 s4, v51
	v_mov_b32_e32 v6, 0
	v_mov_b32_e32 v7, 0
	v_cmp_eq_u32_e64 s[4:5], s4, v51
	s_and_saveexec_b64 s[10:11], s[4:5]
	s_cbranch_execz .LBB5_262
; %bb.257:
	s_waitcnt vmcnt(0)
	v_mov_b32_e32 v0, 0
	global_load_dwordx2 v[11:12], v0, s[36:37] offset:24 glc
	s_waitcnt vmcnt(0)
	buffer_wbinvl1_vol
	global_load_dwordx2 v[1:2], v0, s[36:37] offset:40
	global_load_dwordx2 v[6:7], v0, s[36:37]
	s_waitcnt vmcnt(1)
	v_and_b32_e32 v1, v1, v11
	v_and_b32_e32 v2, v2, v12
	v_mul_lo_u32 v2, v2, 24
	v_mul_hi_u32 v3, v1, 24
	v_mul_lo_u32 v1, v1, 24
	v_add_u32_e32 v2, v3, v2
	s_waitcnt vmcnt(0)
	v_add_co_u32_e32 v1, vcc, v6, v1
	v_addc_co_u32_e32 v2, vcc, v7, v2, vcc
	global_load_dwordx2 v[9:10], v[1:2], off glc
	s_waitcnt vmcnt(0)
	global_atomic_cmpswap_x2 v[6:7], v0, v[9:12], s[36:37] offset:24 glc
	s_waitcnt vmcnt(0)
	buffer_wbinvl1_vol
	v_cmp_ne_u64_e32 vcc, v[6:7], v[11:12]
	s_and_saveexec_b64 s[16:17], vcc
	s_cbranch_execz .LBB5_261
; %bb.258:
	s_mov_b64 s[18:19], 0
.LBB5_259:                              ; =>This Inner Loop Header: Depth=1
	s_sleep 1
	global_load_dwordx2 v[1:2], v0, s[36:37] offset:40
	global_load_dwordx2 v[9:10], v0, s[36:37]
	v_mov_b32_e32 v12, v7
	v_mov_b32_e32 v11, v6
	s_waitcnt vmcnt(1)
	v_and_b32_e32 v1, v1, v11
	s_waitcnt vmcnt(0)
	v_mad_u64_u32 v[6:7], s[20:21], v1, 24, v[9:10]
	v_and_b32_e32 v2, v2, v12
	v_mov_b32_e32 v1, v7
	v_mad_u64_u32 v[1:2], s[20:21], v2, 24, v[1:2]
	v_mov_b32_e32 v7, v1
	global_load_dwordx2 v[9:10], v[6:7], off glc
	s_waitcnt vmcnt(0)
	global_atomic_cmpswap_x2 v[6:7], v0, v[9:12], s[36:37] offset:24 glc
	s_waitcnt vmcnt(0)
	buffer_wbinvl1_vol
	v_cmp_eq_u64_e32 vcc, v[6:7], v[11:12]
	s_or_b64 s[18:19], vcc, s[18:19]
	s_andn2_b64 exec, exec, s[18:19]
	s_cbranch_execnz .LBB5_259
; %bb.260:
	s_or_b64 exec, exec, s[18:19]
.LBB5_261:
	s_or_b64 exec, exec, s[16:17]
.LBB5_262:
	s_or_b64 exec, exec, s[10:11]
	s_waitcnt vmcnt(0)
	v_mov_b32_e32 v10, 0
	global_load_dwordx2 v[11:12], v10, s[36:37] offset:40
	global_load_dwordx4 v[0:3], v10, s[36:37]
	v_readfirstlane_b32 s10, v6
	v_readfirstlane_b32 s11, v7
	s_mov_b64 s[16:17], exec
	s_waitcnt vmcnt(1)
	v_readfirstlane_b32 s18, v11
	v_readfirstlane_b32 s19, v12
	s_and_b64 s[18:19], s[10:11], s[18:19]
	s_mul_i32 s15, s19, 24
	s_mul_hi_u32 s20, s18, 24
	s_mul_i32 s21, s18, 24
	s_add_i32 s15, s20, s15
	v_mov_b32_e32 v7, s15
	s_waitcnt vmcnt(0)
	v_add_co_u32_e32 v6, vcc, s21, v0
	v_addc_co_u32_e32 v7, vcc, v1, v7, vcc
	s_and_saveexec_b64 s[20:21], s[4:5]
	s_cbranch_execz .LBB5_264
; %bb.263:
	v_mov_b32_e32 v11, s16
	v_mov_b32_e32 v12, s17
	;; [unrolled: 1-line block ×4, first 2 shown]
	global_store_dwordx4 v[6:7], v[11:14], off offset:8
.LBB5_264:
	s_or_b64 exec, exec, s[20:21]
	s_lshl_b64 s[16:17], s[18:19], 12
	v_mov_b32_e32 v9, s17
	v_add_co_u32_e32 v2, vcc, s16, v2
	v_addc_co_u32_e32 v3, vcc, v3, v9, vcc
	s_mov_b32 s16, 0
	v_mov_b32_e32 v9, 33
	v_mov_b32_e32 v11, v10
	;; [unrolled: 1-line block ×3, first 2 shown]
	v_readfirstlane_b32 s20, v2
	v_readfirstlane_b32 s21, v3
	v_add_co_u32_e32 v13, vcc, v2, v50
	s_mov_b32 s17, s16
	s_mov_b32 s18, s16
	;; [unrolled: 1-line block ×3, first 2 shown]
	s_nop 0
	global_store_dwordx4 v50, v[9:12], s[20:21]
	v_addc_co_u32_e32 v14, vcc, 0, v3, vcc
	v_mov_b32_e32 v9, s16
	v_mov_b32_e32 v10, s17
	;; [unrolled: 1-line block ×4, first 2 shown]
	global_store_dwordx4 v50, v[9:12], s[20:21] offset:16
	global_store_dwordx4 v50, v[9:12], s[20:21] offset:32
	;; [unrolled: 1-line block ×3, first 2 shown]
	s_and_saveexec_b64 s[16:17], s[4:5]
	s_cbranch_execz .LBB5_272
; %bb.265:
	v_mov_b32_e32 v11, 0
	global_load_dwordx2 v[17:18], v11, s[36:37] offset:32 glc
	global_load_dwordx2 v[2:3], v11, s[36:37] offset:40
	v_mov_b32_e32 v15, s10
	v_mov_b32_e32 v16, s11
	s_waitcnt vmcnt(0)
	v_readfirstlane_b32 s18, v2
	v_readfirstlane_b32 s19, v3
	s_and_b64 s[18:19], s[18:19], s[10:11]
	s_mul_i32 s15, s19, 24
	s_mul_hi_u32 s19, s18, 24
	s_mul_i32 s18, s18, 24
	s_add_i32 s15, s19, s15
	v_mov_b32_e32 v2, s15
	v_add_co_u32_e32 v9, vcc, s18, v0
	v_addc_co_u32_e32 v10, vcc, v1, v2, vcc
	global_store_dwordx2 v[9:10], v[17:18], off
	s_waitcnt vmcnt(0)
	global_atomic_cmpswap_x2 v[2:3], v11, v[15:18], s[36:37] offset:32 glc
	s_waitcnt vmcnt(0)
	v_cmp_ne_u64_e32 vcc, v[2:3], v[17:18]
	s_and_saveexec_b64 s[18:19], vcc
	s_cbranch_execz .LBB5_268
; %bb.266:
	s_mov_b64 s[20:21], 0
.LBB5_267:                              ; =>This Inner Loop Header: Depth=1
	s_sleep 1
	global_store_dwordx2 v[9:10], v[2:3], off
	v_mov_b32_e32 v0, s10
	v_mov_b32_e32 v1, s11
	s_waitcnt vmcnt(0)
	global_atomic_cmpswap_x2 v[0:1], v11, v[0:3], s[36:37] offset:32 glc
	s_waitcnt vmcnt(0)
	v_cmp_eq_u64_e32 vcc, v[0:1], v[2:3]
	v_mov_b32_e32 v3, v1
	s_or_b64 s[20:21], vcc, s[20:21]
	v_mov_b32_e32 v2, v0
	s_andn2_b64 exec, exec, s[20:21]
	s_cbranch_execnz .LBB5_267
.LBB5_268:
	s_or_b64 exec, exec, s[18:19]
	v_mov_b32_e32 v3, 0
	global_load_dwordx2 v[0:1], v3, s[36:37] offset:16
	s_mov_b64 s[18:19], exec
	v_mbcnt_lo_u32_b32 v2, s18, 0
	v_mbcnt_hi_u32_b32 v2, s19, v2
	v_cmp_eq_u32_e32 vcc, 0, v2
	s_and_saveexec_b64 s[20:21], vcc
	s_cbranch_execz .LBB5_270
; %bb.269:
	s_bcnt1_i32_b64 s15, s[18:19]
	v_mov_b32_e32 v2, s15
	s_waitcnt vmcnt(0)
	global_atomic_add_x2 v[0:1], v[2:3], off offset:8
.LBB5_270:
	s_or_b64 exec, exec, s[20:21]
	s_waitcnt vmcnt(0)
	global_load_dwordx2 v[2:3], v[0:1], off offset:16
	s_waitcnt vmcnt(0)
	v_cmp_eq_u64_e32 vcc, 0, v[2:3]
	s_cbranch_vccnz .LBB5_272
; %bb.271:
	global_load_dword v0, v[0:1], off offset:24
	v_mov_b32_e32 v1, 0
	s_waitcnt vmcnt(0)
	global_store_dwordx2 v[2:3], v[0:1], off
	v_and_b32_e32 v0, 0xffffff, v0
	v_readfirstlane_b32 m0, v0
	s_sendmsg sendmsg(MSG_INTERRUPT)
.LBB5_272:
	s_or_b64 exec, exec, s[16:17]
	s_branch .LBB5_276
.LBB5_273:                              ;   in Loop: Header=BB5_276 Depth=1
	s_or_b64 exec, exec, s[16:17]
	v_readfirstlane_b32 s15, v0
	s_cmp_eq_u32 s15, 0
	s_cbranch_scc1 .LBB5_275
; %bb.274:                              ;   in Loop: Header=BB5_276 Depth=1
	s_sleep 1
	s_cbranch_execnz .LBB5_276
	s_branch .LBB5_278
.LBB5_275:
	s_branch .LBB5_278
.LBB5_276:                              ; =>This Inner Loop Header: Depth=1
	v_mov_b32_e32 v0, 1
	s_and_saveexec_b64 s[16:17], s[4:5]
	s_cbranch_execz .LBB5_273
; %bb.277:                              ;   in Loop: Header=BB5_276 Depth=1
	global_load_dword v0, v[6:7], off offset:20 glc
	s_waitcnt vmcnt(0)
	buffer_wbinvl1_vol
	v_and_b32_e32 v0, 1, v0
	s_branch .LBB5_273
.LBB5_278:
	global_load_dwordx2 v[0:1], v[13:14], off
	s_and_saveexec_b64 s[16:17], s[4:5]
	s_cbranch_execz .LBB5_281
; %bb.279:
	v_mov_b32_e32 v6, 0
	global_load_dwordx2 v[2:3], v6, s[36:37] offset:40
	global_load_dwordx2 v[13:14], v6, s[36:37] offset:24 glc
	global_load_dwordx2 v[15:16], v6, s[36:37]
	v_mov_b32_e32 v7, s11
	s_mov_b64 s[4:5], 0
	s_waitcnt vmcnt(2)
	v_add_co_u32_e32 v11, vcc, 1, v2
	v_addc_co_u32_e32 v12, vcc, 0, v3, vcc
	v_add_co_u32_e32 v9, vcc, s10, v11
	v_addc_co_u32_e32 v10, vcc, v12, v7, vcc
	v_cmp_eq_u64_e32 vcc, 0, v[9:10]
	v_cndmask_b32_e32 v10, v10, v12, vcc
	v_cndmask_b32_e32 v9, v9, v11, vcc
	v_and_b32_e32 v3, v10, v3
	v_and_b32_e32 v2, v9, v2
	v_mul_lo_u32 v3, v3, 24
	v_mul_hi_u32 v7, v2, 24
	v_mul_lo_u32 v2, v2, 24
	s_waitcnt vmcnt(1)
	v_mov_b32_e32 v11, v13
	v_mov_b32_e32 v12, v14
	v_add_u32_e32 v3, v7, v3
	s_waitcnt vmcnt(0)
	v_add_co_u32_e32 v2, vcc, v15, v2
	v_addc_co_u32_e32 v3, vcc, v16, v3, vcc
	global_store_dwordx2 v[2:3], v[13:14], off
	s_waitcnt vmcnt(0)
	global_atomic_cmpswap_x2 v[11:12], v6, v[9:12], s[36:37] offset:24 glc
	s_waitcnt vmcnt(0)
	v_cmp_ne_u64_e32 vcc, v[11:12], v[13:14]
	s_and_b64 exec, exec, vcc
	s_cbranch_execz .LBB5_281
.LBB5_280:                              ; =>This Inner Loop Header: Depth=1
	s_sleep 1
	global_store_dwordx2 v[2:3], v[11:12], off
	s_waitcnt vmcnt(0)
	global_atomic_cmpswap_x2 v[13:14], v6, v[9:12], s[36:37] offset:24 glc
	s_waitcnt vmcnt(0)
	v_cmp_eq_u64_e32 vcc, v[13:14], v[11:12]
	v_mov_b32_e32 v11, v13
	s_or_b64 s[4:5], vcc, s[4:5]
	v_mov_b32_e32 v12, v14
	s_andn2_b64 exec, exec, s[4:5]
	s_cbranch_execnz .LBB5_280
.LBB5_281:
	s_or_b64 exec, exec, s[16:17]
	s_getpc_b64 s[10:11]
	s_add_u32 s10, s10, .str.6@rel32@lo+4
	s_addc_u32 s11, s11, .str.6@rel32@hi+12
	s_cmp_lg_u64 s[10:11], 0
	s_cselect_b64 s[38:39], -1, 0
	s_and_b64 vcc, exec, s[38:39]
	s_cbranch_vccz .LBB5_366
; %bb.282:
	s_waitcnt vmcnt(0)
	v_and_b32_e32 v35, 2, v0
	v_mov_b32_e32 v3, 0
	v_and_b32_e32 v9, -3, v0
	v_mov_b32_e32 v10, v1
	s_mov_b64 s[16:17], 3
	v_mov_b32_e32 v13, 2
	v_mov_b32_e32 v14, 1
	s_branch .LBB5_284
.LBB5_283:                              ;   in Loop: Header=BB5_284 Depth=1
	s_or_b64 exec, exec, s[22:23]
	s_sub_u32 s16, s16, s18
	s_subb_u32 s17, s17, s19
	s_add_u32 s10, s10, s18
	s_addc_u32 s11, s11, s19
	s_cmp_lg_u64 s[16:17], 0
	s_cbranch_scc0 .LBB5_365
.LBB5_284:                              ; =>This Loop Header: Depth=1
                                        ;     Child Loop BB5_287 Depth 2
                                        ;     Child Loop BB5_294 Depth 2
	;; [unrolled: 1-line block ×11, first 2 shown]
	v_cmp_lt_u64_e64 s[4:5], s[16:17], 56
	v_cmp_gt_u64_e64 s[20:21], s[16:17], 7
	s_and_b64 s[4:5], s[4:5], exec
	s_cselect_b32 s19, s17, 0
	s_cselect_b32 s18, s16, 56
	s_and_b64 vcc, exec, s[20:21]
	s_cbranch_vccnz .LBB5_289
; %bb.285:                              ;   in Loop: Header=BB5_284 Depth=1
	v_mov_b32_e32 v17, 0
	s_cmp_eq_u64 s[16:17], 0
	v_mov_b32_e32 v18, 0
	s_mov_b64 s[4:5], 0
	s_cbranch_scc1 .LBB5_288
; %bb.286:                              ;   in Loop: Header=BB5_284 Depth=1
	v_mov_b32_e32 v17, 0
	s_lshl_b64 s[20:21], s[18:19], 3
	s_mov_b64 s[22:23], 0
	v_mov_b32_e32 v18, 0
	s_mov_b64 s[24:25], s[10:11]
.LBB5_287:                              ;   Parent Loop BB5_284 Depth=1
                                        ; =>  This Inner Loop Header: Depth=2
	global_load_ubyte v2, v3, s[24:25]
	s_waitcnt vmcnt(0)
	v_and_b32_e32 v2, 0xffff, v2
	v_lshlrev_b64 v[6:7], s22, v[2:3]
	s_add_u32 s22, s22, 8
	s_addc_u32 s23, s23, 0
	s_add_u32 s24, s24, 1
	s_addc_u32 s25, s25, 0
	v_or_b32_e32 v17, v6, v17
	s_cmp_lg_u32 s20, s22
	v_or_b32_e32 v18, v7, v18
	s_cbranch_scc1 .LBB5_287
.LBB5_288:                              ;   in Loop: Header=BB5_284 Depth=1
	s_mov_b32 s15, 0
	s_andn2_b64 vcc, exec, s[4:5]
	s_mov_b64 s[4:5], s[10:11]
	s_cbranch_vccz .LBB5_290
	s_branch .LBB5_291
.LBB5_289:                              ;   in Loop: Header=BB5_284 Depth=1
                                        ; implicit-def: $vgpr17_vgpr18
                                        ; implicit-def: $sgpr15
	s_mov_b64 s[4:5], s[10:11]
.LBB5_290:                              ;   in Loop: Header=BB5_284 Depth=1
	global_load_dwordx2 v[17:18], v3, s[10:11]
	s_add_i32 s15, s18, -8
	s_add_u32 s4, s10, 8
	s_addc_u32 s5, s11, 0
.LBB5_291:                              ;   in Loop: Header=BB5_284 Depth=1
	s_cmp_gt_u32 s15, 7
	s_cbranch_scc1 .LBB5_295
; %bb.292:                              ;   in Loop: Header=BB5_284 Depth=1
	s_cmp_eq_u32 s15, 0
	s_cbranch_scc1 .LBB5_296
; %bb.293:                              ;   in Loop: Header=BB5_284 Depth=1
	v_mov_b32_e32 v19, 0
	s_mov_b64 s[20:21], 0
	v_mov_b32_e32 v20, 0
	s_mov_b64 s[22:23], 0
.LBB5_294:                              ;   Parent Loop BB5_284 Depth=1
                                        ; =>  This Inner Loop Header: Depth=2
	s_add_u32 s24, s4, s22
	s_addc_u32 s25, s5, s23
	global_load_ubyte v2, v3, s[24:25]
	s_add_u32 s22, s22, 1
	s_addc_u32 s23, s23, 0
	s_waitcnt vmcnt(0)
	v_and_b32_e32 v2, 0xffff, v2
	v_lshlrev_b64 v[6:7], s20, v[2:3]
	s_add_u32 s20, s20, 8
	s_addc_u32 s21, s21, 0
	v_or_b32_e32 v19, v6, v19
	s_cmp_lg_u32 s15, s22
	v_or_b32_e32 v20, v7, v20
	s_cbranch_scc1 .LBB5_294
	s_branch .LBB5_297
.LBB5_295:                              ;   in Loop: Header=BB5_284 Depth=1
                                        ; implicit-def: $vgpr19_vgpr20
                                        ; implicit-def: $sgpr24
	s_branch .LBB5_298
.LBB5_296:                              ;   in Loop: Header=BB5_284 Depth=1
	v_mov_b32_e32 v19, 0
	v_mov_b32_e32 v20, 0
.LBB5_297:                              ;   in Loop: Header=BB5_284 Depth=1
	s_mov_b32 s24, 0
	s_cbranch_execnz .LBB5_299
.LBB5_298:                              ;   in Loop: Header=BB5_284 Depth=1
	global_load_dwordx2 v[19:20], v3, s[4:5]
	s_add_i32 s24, s15, -8
	s_add_u32 s4, s4, 8
	s_addc_u32 s5, s5, 0
.LBB5_299:                              ;   in Loop: Header=BB5_284 Depth=1
	s_cmp_gt_u32 s24, 7
	s_cbranch_scc1 .LBB5_303
; %bb.300:                              ;   in Loop: Header=BB5_284 Depth=1
	s_cmp_eq_u32 s24, 0
	s_cbranch_scc1 .LBB5_304
; %bb.301:                              ;   in Loop: Header=BB5_284 Depth=1
	v_mov_b32_e32 v21, 0
	s_mov_b64 s[20:21], 0
	v_mov_b32_e32 v22, 0
	s_mov_b64 s[22:23], 0
.LBB5_302:                              ;   Parent Loop BB5_284 Depth=1
                                        ; =>  This Inner Loop Header: Depth=2
	s_add_u32 s26, s4, s22
	s_addc_u32 s27, s5, s23
	global_load_ubyte v2, v3, s[26:27]
	s_add_u32 s22, s22, 1
	s_addc_u32 s23, s23, 0
	s_waitcnt vmcnt(0)
	v_and_b32_e32 v2, 0xffff, v2
	v_lshlrev_b64 v[6:7], s20, v[2:3]
	s_add_u32 s20, s20, 8
	s_addc_u32 s21, s21, 0
	v_or_b32_e32 v21, v6, v21
	s_cmp_lg_u32 s24, s22
	v_or_b32_e32 v22, v7, v22
	s_cbranch_scc1 .LBB5_302
	s_branch .LBB5_305
.LBB5_303:                              ;   in Loop: Header=BB5_284 Depth=1
                                        ; implicit-def: $sgpr15
	s_branch .LBB5_306
.LBB5_304:                              ;   in Loop: Header=BB5_284 Depth=1
	v_mov_b32_e32 v21, 0
	v_mov_b32_e32 v22, 0
.LBB5_305:                              ;   in Loop: Header=BB5_284 Depth=1
	s_mov_b32 s15, 0
	s_cbranch_execnz .LBB5_307
.LBB5_306:                              ;   in Loop: Header=BB5_284 Depth=1
	global_load_dwordx2 v[21:22], v3, s[4:5]
	s_add_i32 s15, s24, -8
	s_add_u32 s4, s4, 8
	s_addc_u32 s5, s5, 0
.LBB5_307:                              ;   in Loop: Header=BB5_284 Depth=1
	s_cmp_gt_u32 s15, 7
	s_cbranch_scc1 .LBB5_311
; %bb.308:                              ;   in Loop: Header=BB5_284 Depth=1
	s_cmp_eq_u32 s15, 0
	s_cbranch_scc1 .LBB5_312
; %bb.309:                              ;   in Loop: Header=BB5_284 Depth=1
	v_mov_b32_e32 v23, 0
	s_mov_b64 s[20:21], 0
	v_mov_b32_e32 v24, 0
	s_mov_b64 s[22:23], 0
.LBB5_310:                              ;   Parent Loop BB5_284 Depth=1
                                        ; =>  This Inner Loop Header: Depth=2
	s_add_u32 s24, s4, s22
	s_addc_u32 s25, s5, s23
	global_load_ubyte v2, v3, s[24:25]
	s_add_u32 s22, s22, 1
	s_addc_u32 s23, s23, 0
	s_waitcnt vmcnt(0)
	v_and_b32_e32 v2, 0xffff, v2
	v_lshlrev_b64 v[6:7], s20, v[2:3]
	s_add_u32 s20, s20, 8
	s_addc_u32 s21, s21, 0
	v_or_b32_e32 v23, v6, v23
	s_cmp_lg_u32 s15, s22
	v_or_b32_e32 v24, v7, v24
	s_cbranch_scc1 .LBB5_310
	s_branch .LBB5_313
.LBB5_311:                              ;   in Loop: Header=BB5_284 Depth=1
                                        ; implicit-def: $vgpr23_vgpr24
                                        ; implicit-def: $sgpr24
	s_branch .LBB5_314
.LBB5_312:                              ;   in Loop: Header=BB5_284 Depth=1
	v_mov_b32_e32 v23, 0
	v_mov_b32_e32 v24, 0
.LBB5_313:                              ;   in Loop: Header=BB5_284 Depth=1
	s_mov_b32 s24, 0
	s_cbranch_execnz .LBB5_315
.LBB5_314:                              ;   in Loop: Header=BB5_284 Depth=1
	global_load_dwordx2 v[23:24], v3, s[4:5]
	s_add_i32 s24, s15, -8
	s_add_u32 s4, s4, 8
	s_addc_u32 s5, s5, 0
.LBB5_315:                              ;   in Loop: Header=BB5_284 Depth=1
	s_cmp_gt_u32 s24, 7
	s_cbranch_scc1 .LBB5_319
; %bb.316:                              ;   in Loop: Header=BB5_284 Depth=1
	s_cmp_eq_u32 s24, 0
	s_cbranch_scc1 .LBB5_320
; %bb.317:                              ;   in Loop: Header=BB5_284 Depth=1
	v_mov_b32_e32 v25, 0
	s_mov_b64 s[20:21], 0
	v_mov_b32_e32 v26, 0
	s_mov_b64 s[22:23], 0
.LBB5_318:                              ;   Parent Loop BB5_284 Depth=1
                                        ; =>  This Inner Loop Header: Depth=2
	s_add_u32 s26, s4, s22
	s_addc_u32 s27, s5, s23
	global_load_ubyte v2, v3, s[26:27]
	s_add_u32 s22, s22, 1
	s_addc_u32 s23, s23, 0
	s_waitcnt vmcnt(0)
	v_and_b32_e32 v2, 0xffff, v2
	v_lshlrev_b64 v[6:7], s20, v[2:3]
	s_add_u32 s20, s20, 8
	s_addc_u32 s21, s21, 0
	v_or_b32_e32 v25, v6, v25
	s_cmp_lg_u32 s24, s22
	v_or_b32_e32 v26, v7, v26
	s_cbranch_scc1 .LBB5_318
	s_branch .LBB5_321
.LBB5_319:                              ;   in Loop: Header=BB5_284 Depth=1
                                        ; implicit-def: $sgpr15
	s_branch .LBB5_322
.LBB5_320:                              ;   in Loop: Header=BB5_284 Depth=1
	v_mov_b32_e32 v25, 0
	v_mov_b32_e32 v26, 0
.LBB5_321:                              ;   in Loop: Header=BB5_284 Depth=1
	s_mov_b32 s15, 0
	s_cbranch_execnz .LBB5_323
.LBB5_322:                              ;   in Loop: Header=BB5_284 Depth=1
	global_load_dwordx2 v[25:26], v3, s[4:5]
	s_add_i32 s15, s24, -8
	s_add_u32 s4, s4, 8
	s_addc_u32 s5, s5, 0
.LBB5_323:                              ;   in Loop: Header=BB5_284 Depth=1
	s_cmp_gt_u32 s15, 7
	s_cbranch_scc1 .LBB5_327
; %bb.324:                              ;   in Loop: Header=BB5_284 Depth=1
	s_cmp_eq_u32 s15, 0
	s_cbranch_scc1 .LBB5_328
; %bb.325:                              ;   in Loop: Header=BB5_284 Depth=1
	v_mov_b32_e32 v27, 0
	s_mov_b64 s[20:21], 0
	v_mov_b32_e32 v28, 0
	s_mov_b64 s[22:23], 0
.LBB5_326:                              ;   Parent Loop BB5_284 Depth=1
                                        ; =>  This Inner Loop Header: Depth=2
	s_add_u32 s24, s4, s22
	s_addc_u32 s25, s5, s23
	global_load_ubyte v2, v3, s[24:25]
	s_add_u32 s22, s22, 1
	s_addc_u32 s23, s23, 0
	s_waitcnt vmcnt(0)
	v_and_b32_e32 v2, 0xffff, v2
	v_lshlrev_b64 v[6:7], s20, v[2:3]
	s_add_u32 s20, s20, 8
	s_addc_u32 s21, s21, 0
	v_or_b32_e32 v27, v6, v27
	s_cmp_lg_u32 s15, s22
	v_or_b32_e32 v28, v7, v28
	s_cbranch_scc1 .LBB5_326
	s_branch .LBB5_329
.LBB5_327:                              ;   in Loop: Header=BB5_284 Depth=1
                                        ; implicit-def: $vgpr27_vgpr28
                                        ; implicit-def: $sgpr24
	s_branch .LBB5_330
.LBB5_328:                              ;   in Loop: Header=BB5_284 Depth=1
	v_mov_b32_e32 v27, 0
	v_mov_b32_e32 v28, 0
.LBB5_329:                              ;   in Loop: Header=BB5_284 Depth=1
	s_mov_b32 s24, 0
	s_cbranch_execnz .LBB5_331
.LBB5_330:                              ;   in Loop: Header=BB5_284 Depth=1
	global_load_dwordx2 v[27:28], v3, s[4:5]
	s_add_i32 s24, s15, -8
	s_add_u32 s4, s4, 8
	s_addc_u32 s5, s5, 0
.LBB5_331:                              ;   in Loop: Header=BB5_284 Depth=1
	s_cmp_gt_u32 s24, 7
	s_cbranch_scc1 .LBB5_335
; %bb.332:                              ;   in Loop: Header=BB5_284 Depth=1
	s_cmp_eq_u32 s24, 0
	s_cbranch_scc1 .LBB5_336
; %bb.333:                              ;   in Loop: Header=BB5_284 Depth=1
	v_mov_b32_e32 v29, 0
	s_mov_b64 s[20:21], 0
	v_mov_b32_e32 v30, 0
	s_mov_b64 s[22:23], s[4:5]
.LBB5_334:                              ;   Parent Loop BB5_284 Depth=1
                                        ; =>  This Inner Loop Header: Depth=2
	global_load_ubyte v2, v3, s[22:23]
	s_add_i32 s24, s24, -1
	s_waitcnt vmcnt(0)
	v_and_b32_e32 v2, 0xffff, v2
	v_lshlrev_b64 v[6:7], s20, v[2:3]
	s_add_u32 s20, s20, 8
	s_addc_u32 s21, s21, 0
	s_add_u32 s22, s22, 1
	s_addc_u32 s23, s23, 0
	v_or_b32_e32 v29, v6, v29
	s_cmp_lg_u32 s24, 0
	v_or_b32_e32 v30, v7, v30
	s_cbranch_scc1 .LBB5_334
	s_branch .LBB5_337
.LBB5_335:                              ;   in Loop: Header=BB5_284 Depth=1
	s_branch .LBB5_338
.LBB5_336:                              ;   in Loop: Header=BB5_284 Depth=1
	v_mov_b32_e32 v29, 0
	v_mov_b32_e32 v30, 0
.LBB5_337:                              ;   in Loop: Header=BB5_284 Depth=1
	s_cbranch_execnz .LBB5_339
.LBB5_338:                              ;   in Loop: Header=BB5_284 Depth=1
	global_load_dwordx2 v[29:30], v3, s[4:5]
.LBB5_339:                              ;   in Loop: Header=BB5_284 Depth=1
	v_readfirstlane_b32 s4, v51
	v_mov_b32_e32 v6, 0
	v_mov_b32_e32 v7, 0
	v_cmp_eq_u32_e64 s[4:5], s4, v51
	s_and_saveexec_b64 s[20:21], s[4:5]
	s_cbranch_execz .LBB5_345
; %bb.340:                              ;   in Loop: Header=BB5_284 Depth=1
	global_load_dwordx2 v[33:34], v3, s[36:37] offset:24 glc
	s_waitcnt vmcnt(0)
	buffer_wbinvl1_vol
	global_load_dwordx2 v[6:7], v3, s[36:37] offset:40
	global_load_dwordx2 v[11:12], v3, s[36:37]
	s_waitcnt vmcnt(1)
	v_and_b32_e32 v2, v6, v33
	v_and_b32_e32 v6, v7, v34
	v_mul_lo_u32 v6, v6, 24
	v_mul_hi_u32 v7, v2, 24
	v_mul_lo_u32 v2, v2, 24
	v_add_u32_e32 v7, v7, v6
	s_waitcnt vmcnt(0)
	v_add_co_u32_e32 v6, vcc, v11, v2
	v_addc_co_u32_e32 v7, vcc, v12, v7, vcc
	global_load_dwordx2 v[31:32], v[6:7], off glc
	s_waitcnt vmcnt(0)
	global_atomic_cmpswap_x2 v[6:7], v3, v[31:34], s[36:37] offset:24 glc
	s_waitcnt vmcnt(0)
	buffer_wbinvl1_vol
	v_cmp_ne_u64_e32 vcc, v[6:7], v[33:34]
	s_and_saveexec_b64 s[22:23], vcc
	s_cbranch_execz .LBB5_344
; %bb.341:                              ;   in Loop: Header=BB5_284 Depth=1
	s_mov_b64 s[24:25], 0
.LBB5_342:                              ;   Parent Loop BB5_284 Depth=1
                                        ; =>  This Inner Loop Header: Depth=2
	s_sleep 1
	global_load_dwordx2 v[11:12], v3, s[36:37] offset:40
	global_load_dwordx2 v[15:16], v3, s[36:37]
	v_mov_b32_e32 v34, v7
	v_mov_b32_e32 v33, v6
	s_waitcnt vmcnt(1)
	v_and_b32_e32 v2, v11, v33
	s_waitcnt vmcnt(0)
	v_mad_u64_u32 v[6:7], s[26:27], v2, 24, v[15:16]
	v_and_b32_e32 v11, v12, v34
	v_mov_b32_e32 v2, v7
	v_mad_u64_u32 v[11:12], s[26:27], v11, 24, v[2:3]
	v_mov_b32_e32 v7, v11
	global_load_dwordx2 v[31:32], v[6:7], off glc
	s_waitcnt vmcnt(0)
	global_atomic_cmpswap_x2 v[6:7], v3, v[31:34], s[36:37] offset:24 glc
	s_waitcnt vmcnt(0)
	buffer_wbinvl1_vol
	v_cmp_eq_u64_e32 vcc, v[6:7], v[33:34]
	s_or_b64 s[24:25], vcc, s[24:25]
	s_andn2_b64 exec, exec, s[24:25]
	s_cbranch_execnz .LBB5_342
; %bb.343:                              ;   in Loop: Header=BB5_284 Depth=1
	s_or_b64 exec, exec, s[24:25]
.LBB5_344:                              ;   in Loop: Header=BB5_284 Depth=1
	s_or_b64 exec, exec, s[22:23]
.LBB5_345:                              ;   in Loop: Header=BB5_284 Depth=1
	s_or_b64 exec, exec, s[20:21]
	global_load_dwordx2 v[11:12], v3, s[36:37] offset:40
	global_load_dwordx4 v[31:34], v3, s[36:37]
	v_readfirstlane_b32 s20, v6
	v_readfirstlane_b32 s21, v7
	s_mov_b64 s[22:23], exec
	s_waitcnt vmcnt(1)
	v_readfirstlane_b32 s24, v11
	v_readfirstlane_b32 s25, v12
	s_and_b64 s[24:25], s[20:21], s[24:25]
	s_mul_i32 s15, s25, 24
	s_mul_hi_u32 s26, s24, 24
	s_mul_i32 s27, s24, 24
	s_add_i32 s15, s26, s15
	v_mov_b32_e32 v2, s15
	s_waitcnt vmcnt(0)
	v_add_co_u32_e32 v6, vcc, s27, v31
	v_addc_co_u32_e32 v7, vcc, v32, v2, vcc
	s_and_saveexec_b64 s[26:27], s[4:5]
	s_cbranch_execz .LBB5_347
; %bb.346:                              ;   in Loop: Header=BB5_284 Depth=1
	v_mov_b32_e32 v11, s22
	v_mov_b32_e32 v12, s23
	global_store_dwordx4 v[6:7], v[11:14], off offset:8
.LBB5_347:                              ;   in Loop: Header=BB5_284 Depth=1
	s_or_b64 exec, exec, s[26:27]
	s_lshl_b64 s[22:23], s[24:25], 12
	v_mov_b32_e32 v2, s23
	v_add_co_u32_e32 v33, vcc, s22, v33
	v_addc_co_u32_e32 v34, vcc, v34, v2, vcc
	v_cmp_gt_u64_e64 vcc, s[16:17], 56
	v_or_b32_e32 v2, 0, v10
	v_or_b32_e32 v11, v9, v35
	s_lshl_b32 s15, s18, 2
	v_cndmask_b32_e32 v16, v2, v10, vcc
	v_cndmask_b32_e32 v2, v11, v9, vcc
	s_add_i32 s15, s15, 28
	s_and_b32 s15, s15, 0x1e0
	v_and_b32_e32 v2, 0xffffff1f, v2
	v_or_b32_e32 v15, s15, v2
	v_readfirstlane_b32 s22, v33
	v_readfirstlane_b32 s23, v34
	s_nop 4
	global_store_dwordx4 v50, v[15:18], s[22:23]
	global_store_dwordx4 v50, v[19:22], s[22:23] offset:16
	global_store_dwordx4 v50, v[23:26], s[22:23] offset:32
	global_store_dwordx4 v50, v[27:30], s[22:23] offset:48
	s_and_saveexec_b64 s[22:23], s[4:5]
	s_cbranch_execz .LBB5_355
; %bb.348:                              ;   in Loop: Header=BB5_284 Depth=1
	global_load_dwordx2 v[19:20], v3, s[36:37] offset:32 glc
	global_load_dwordx2 v[9:10], v3, s[36:37] offset:40
	v_mov_b32_e32 v17, s20
	v_mov_b32_e32 v18, s21
	s_waitcnt vmcnt(0)
	v_readfirstlane_b32 s24, v9
	v_readfirstlane_b32 s25, v10
	s_and_b64 s[24:25], s[24:25], s[20:21]
	s_mul_i32 s15, s25, 24
	s_mul_hi_u32 s25, s24, 24
	s_mul_i32 s24, s24, 24
	s_add_i32 s15, s25, s15
	v_mov_b32_e32 v2, s15
	v_add_co_u32_e32 v15, vcc, s24, v31
	v_addc_co_u32_e32 v16, vcc, v32, v2, vcc
	global_store_dwordx2 v[15:16], v[19:20], off
	s_waitcnt vmcnt(0)
	global_atomic_cmpswap_x2 v[11:12], v3, v[17:20], s[36:37] offset:32 glc
	s_waitcnt vmcnt(0)
	v_cmp_ne_u64_e32 vcc, v[11:12], v[19:20]
	s_and_saveexec_b64 s[24:25], vcc
	s_cbranch_execz .LBB5_351
; %bb.349:                              ;   in Loop: Header=BB5_284 Depth=1
	s_mov_b64 s[26:27], 0
.LBB5_350:                              ;   Parent Loop BB5_284 Depth=1
                                        ; =>  This Inner Loop Header: Depth=2
	s_sleep 1
	global_store_dwordx2 v[15:16], v[11:12], off
	v_mov_b32_e32 v9, s20
	v_mov_b32_e32 v10, s21
	s_waitcnt vmcnt(0)
	global_atomic_cmpswap_x2 v[9:10], v3, v[9:12], s[36:37] offset:32 glc
	s_waitcnt vmcnt(0)
	v_cmp_eq_u64_e32 vcc, v[9:10], v[11:12]
	v_mov_b32_e32 v12, v10
	s_or_b64 s[26:27], vcc, s[26:27]
	v_mov_b32_e32 v11, v9
	s_andn2_b64 exec, exec, s[26:27]
	s_cbranch_execnz .LBB5_350
.LBB5_351:                              ;   in Loop: Header=BB5_284 Depth=1
	s_or_b64 exec, exec, s[24:25]
	global_load_dwordx2 v[9:10], v3, s[36:37] offset:16
	s_mov_b64 s[26:27], exec
	v_mbcnt_lo_u32_b32 v2, s26, 0
	v_mbcnt_hi_u32_b32 v2, s27, v2
	v_cmp_eq_u32_e32 vcc, 0, v2
	s_and_saveexec_b64 s[24:25], vcc
	s_cbranch_execz .LBB5_353
; %bb.352:                              ;   in Loop: Header=BB5_284 Depth=1
	s_bcnt1_i32_b64 s15, s[26:27]
	v_mov_b32_e32 v2, s15
	s_waitcnt vmcnt(0)
	global_atomic_add_x2 v[9:10], v[2:3], off offset:8
.LBB5_353:                              ;   in Loop: Header=BB5_284 Depth=1
	s_or_b64 exec, exec, s[24:25]
	s_waitcnt vmcnt(0)
	global_load_dwordx2 v[11:12], v[9:10], off offset:16
	s_waitcnt vmcnt(0)
	v_cmp_eq_u64_e32 vcc, 0, v[11:12]
	s_cbranch_vccnz .LBB5_355
; %bb.354:                              ;   in Loop: Header=BB5_284 Depth=1
	global_load_dword v2, v[9:10], off offset:24
	s_waitcnt vmcnt(0)
	global_store_dwordx2 v[11:12], v[2:3], off
	v_and_b32_e32 v2, 0xffffff, v2
	v_readfirstlane_b32 m0, v2
	s_sendmsg sendmsg(MSG_INTERRUPT)
.LBB5_355:                              ;   in Loop: Header=BB5_284 Depth=1
	s_or_b64 exec, exec, s[22:23]
	v_add_co_u32_e32 v9, vcc, v33, v50
	v_addc_co_u32_e32 v10, vcc, 0, v34, vcc
	s_branch .LBB5_359
.LBB5_356:                              ;   in Loop: Header=BB5_359 Depth=2
	s_or_b64 exec, exec, s[22:23]
	v_readfirstlane_b32 s15, v2
	s_cmp_eq_u32 s15, 0
	s_cbranch_scc1 .LBB5_358
; %bb.357:                              ;   in Loop: Header=BB5_359 Depth=2
	s_sleep 1
	s_cbranch_execnz .LBB5_359
	s_branch .LBB5_361
.LBB5_358:                              ;   in Loop: Header=BB5_284 Depth=1
	s_branch .LBB5_361
.LBB5_359:                              ;   Parent Loop BB5_284 Depth=1
                                        ; =>  This Inner Loop Header: Depth=2
	v_mov_b32_e32 v2, 1
	s_and_saveexec_b64 s[22:23], s[4:5]
	s_cbranch_execz .LBB5_356
; %bb.360:                              ;   in Loop: Header=BB5_359 Depth=2
	global_load_dword v2, v[6:7], off offset:20 glc
	s_waitcnt vmcnt(0)
	buffer_wbinvl1_vol
	v_and_b32_e32 v2, 1, v2
	s_branch .LBB5_356
.LBB5_361:                              ;   in Loop: Header=BB5_284 Depth=1
	global_load_dwordx4 v[9:12], v[9:10], off
	s_and_saveexec_b64 s[22:23], s[4:5]
	s_cbranch_execz .LBB5_283
; %bb.362:                              ;   in Loop: Header=BB5_284 Depth=1
	global_load_dwordx2 v[6:7], v3, s[36:37] offset:40
	global_load_dwordx2 v[11:12], v3, s[36:37] offset:24 glc
	global_load_dwordx2 v[18:19], v3, s[36:37]
	v_mov_b32_e32 v2, s21
	s_waitcnt vmcnt(2)
	v_add_co_u32_e32 v17, vcc, 1, v6
	v_addc_co_u32_e32 v20, vcc, 0, v7, vcc
	v_add_co_u32_e32 v15, vcc, s20, v17
	v_addc_co_u32_e32 v16, vcc, v20, v2, vcc
	v_cmp_eq_u64_e32 vcc, 0, v[15:16]
	v_cndmask_b32_e32 v16, v16, v20, vcc
	v_cndmask_b32_e32 v15, v15, v17, vcc
	v_and_b32_e32 v2, v16, v7
	v_and_b32_e32 v6, v15, v6
	v_mul_lo_u32 v2, v2, 24
	v_mul_hi_u32 v7, v6, 24
	v_mul_lo_u32 v6, v6, 24
	s_waitcnt vmcnt(1)
	v_mov_b32_e32 v17, v11
	v_add_u32_e32 v2, v7, v2
	s_waitcnt vmcnt(0)
	v_add_co_u32_e32 v6, vcc, v18, v6
	v_addc_co_u32_e32 v7, vcc, v19, v2, vcc
	global_store_dwordx2 v[6:7], v[11:12], off
	v_mov_b32_e32 v18, v12
	s_waitcnt vmcnt(0)
	global_atomic_cmpswap_x2 v[17:18], v3, v[15:18], s[36:37] offset:24 glc
	s_waitcnt vmcnt(0)
	v_cmp_ne_u64_e32 vcc, v[17:18], v[11:12]
	s_and_b64 exec, exec, vcc
	s_cbranch_execz .LBB5_283
; %bb.363:                              ;   in Loop: Header=BB5_284 Depth=1
	s_mov_b64 s[4:5], 0
.LBB5_364:                              ;   Parent Loop BB5_284 Depth=1
                                        ; =>  This Inner Loop Header: Depth=2
	s_sleep 1
	global_store_dwordx2 v[6:7], v[17:18], off
	s_waitcnt vmcnt(0)
	global_atomic_cmpswap_x2 v[11:12], v3, v[15:18], s[36:37] offset:24 glc
	s_waitcnt vmcnt(0)
	v_cmp_eq_u64_e32 vcc, v[11:12], v[17:18]
	v_mov_b32_e32 v18, v12
	s_or_b64 s[4:5], vcc, s[4:5]
	v_mov_b32_e32 v17, v11
	s_andn2_b64 exec, exec, s[4:5]
	s_cbranch_execnz .LBB5_364
	s_branch .LBB5_283
.LBB5_365:
	s_branch .LBB5_393
.LBB5_366:
                                        ; implicit-def: $vgpr9_vgpr10
	s_cbranch_execz .LBB5_393
; %bb.367:
	v_readfirstlane_b32 s4, v51
	v_mov_b32_e32 v6, 0
	v_mov_b32_e32 v7, 0
	v_cmp_eq_u32_e64 s[4:5], s4, v51
	s_and_saveexec_b64 s[10:11], s[4:5]
	s_cbranch_execz .LBB5_373
; %bb.368:
	v_mov_b32_e32 v2, 0
	global_load_dwordx2 v[11:12], v2, s[36:37] offset:24 glc
	s_waitcnt vmcnt(0)
	buffer_wbinvl1_vol
	global_load_dwordx2 v[6:7], v2, s[36:37] offset:40
	global_load_dwordx2 v[9:10], v2, s[36:37]
	s_waitcnt vmcnt(1)
	v_and_b32_e32 v3, v6, v11
	v_and_b32_e32 v6, v7, v12
	v_mul_lo_u32 v6, v6, 24
	v_mul_hi_u32 v7, v3, 24
	v_mul_lo_u32 v3, v3, 24
	v_add_u32_e32 v7, v7, v6
	s_waitcnt vmcnt(0)
	v_add_co_u32_e32 v6, vcc, v9, v3
	v_addc_co_u32_e32 v7, vcc, v10, v7, vcc
	global_load_dwordx2 v[9:10], v[6:7], off glc
	s_waitcnt vmcnt(0)
	global_atomic_cmpswap_x2 v[6:7], v2, v[9:12], s[36:37] offset:24 glc
	s_waitcnt vmcnt(0)
	buffer_wbinvl1_vol
	v_cmp_ne_u64_e32 vcc, v[6:7], v[11:12]
	s_and_saveexec_b64 s[16:17], vcc
	s_cbranch_execz .LBB5_372
; %bb.369:
	s_mov_b64 s[18:19], 0
.LBB5_370:                              ; =>This Inner Loop Header: Depth=1
	s_sleep 1
	global_load_dwordx2 v[9:10], v2, s[36:37] offset:40
	global_load_dwordx2 v[13:14], v2, s[36:37]
	v_mov_b32_e32 v12, v7
	v_mov_b32_e32 v11, v6
	s_waitcnt vmcnt(1)
	v_and_b32_e32 v3, v9, v11
	s_waitcnt vmcnt(0)
	v_mad_u64_u32 v[6:7], s[20:21], v3, 24, v[13:14]
	v_and_b32_e32 v9, v10, v12
	v_mov_b32_e32 v3, v7
	v_mad_u64_u32 v[9:10], s[20:21], v9, 24, v[3:4]
	v_mov_b32_e32 v7, v9
	global_load_dwordx2 v[9:10], v[6:7], off glc
	s_waitcnt vmcnt(0)
	global_atomic_cmpswap_x2 v[6:7], v2, v[9:12], s[36:37] offset:24 glc
	s_waitcnt vmcnt(0)
	buffer_wbinvl1_vol
	v_cmp_eq_u64_e32 vcc, v[6:7], v[11:12]
	s_or_b64 s[18:19], vcc, s[18:19]
	s_andn2_b64 exec, exec, s[18:19]
	s_cbranch_execnz .LBB5_370
; %bb.371:
	s_or_b64 exec, exec, s[18:19]
.LBB5_372:
	s_or_b64 exec, exec, s[16:17]
.LBB5_373:
	s_or_b64 exec, exec, s[10:11]
	v_mov_b32_e32 v2, 0
	global_load_dwordx2 v[13:14], v2, s[36:37] offset:40
	global_load_dwordx4 v[9:12], v2, s[36:37]
	v_readfirstlane_b32 s10, v6
	v_readfirstlane_b32 s11, v7
	s_mov_b64 s[16:17], exec
	s_waitcnt vmcnt(1)
	v_readfirstlane_b32 s18, v13
	v_readfirstlane_b32 s19, v14
	s_and_b64 s[18:19], s[10:11], s[18:19]
	s_mul_i32 s15, s19, 24
	s_mul_hi_u32 s20, s18, 24
	s_mul_i32 s21, s18, 24
	s_add_i32 s15, s20, s15
	v_mov_b32_e32 v3, s15
	s_waitcnt vmcnt(0)
	v_add_co_u32_e32 v6, vcc, s21, v9
	v_addc_co_u32_e32 v7, vcc, v10, v3, vcc
	s_and_saveexec_b64 s[20:21], s[4:5]
	s_cbranch_execz .LBB5_375
; %bb.374:
	v_mov_b32_e32 v13, s16
	v_mov_b32_e32 v14, s17
	;; [unrolled: 1-line block ×4, first 2 shown]
	global_store_dwordx4 v[6:7], v[13:16], off offset:8
.LBB5_375:
	s_or_b64 exec, exec, s[20:21]
	s_lshl_b64 s[16:17], s[18:19], 12
	v_mov_b32_e32 v3, s17
	v_add_co_u32_e32 v13, vcc, s16, v11
	v_addc_co_u32_e32 v14, vcc, v12, v3, vcc
	s_movk_i32 s15, 0xff1f
	v_and_or_b32 v0, v0, s15, 32
	s_mov_b32 s16, 0
	v_mov_b32_e32 v3, v2
	v_readfirstlane_b32 s20, v13
	v_readfirstlane_b32 s21, v14
	v_add_co_u32_e32 v11, vcc, v13, v50
	s_mov_b32 s17, s16
	s_mov_b32 s18, s16
	;; [unrolled: 1-line block ×3, first 2 shown]
	s_nop 0
	global_store_dwordx4 v50, v[0:3], s[20:21]
	v_addc_co_u32_e32 v12, vcc, 0, v14, vcc
	v_mov_b32_e32 v0, s16
	v_mov_b32_e32 v1, s17
	;; [unrolled: 1-line block ×4, first 2 shown]
	global_store_dwordx4 v50, v[0:3], s[20:21] offset:16
	global_store_dwordx4 v50, v[0:3], s[20:21] offset:32
	;; [unrolled: 1-line block ×3, first 2 shown]
	s_and_saveexec_b64 s[16:17], s[4:5]
	s_cbranch_execz .LBB5_383
; %bb.376:
	v_mov_b32_e32 v13, 0
	global_load_dwordx2 v[16:17], v13, s[36:37] offset:32 glc
	global_load_dwordx2 v[0:1], v13, s[36:37] offset:40
	v_mov_b32_e32 v14, s10
	v_mov_b32_e32 v15, s11
	s_waitcnt vmcnt(0)
	v_readfirstlane_b32 s18, v0
	v_readfirstlane_b32 s19, v1
	s_and_b64 s[18:19], s[18:19], s[10:11]
	s_mul_i32 s15, s19, 24
	s_mul_hi_u32 s19, s18, 24
	s_mul_i32 s18, s18, 24
	s_add_i32 s15, s19, s15
	v_mov_b32_e32 v0, s15
	v_add_co_u32_e32 v9, vcc, s18, v9
	v_addc_co_u32_e32 v10, vcc, v10, v0, vcc
	global_store_dwordx2 v[9:10], v[16:17], off
	s_waitcnt vmcnt(0)
	global_atomic_cmpswap_x2 v[2:3], v13, v[14:17], s[36:37] offset:32 glc
	s_waitcnt vmcnt(0)
	v_cmp_ne_u64_e32 vcc, v[2:3], v[16:17]
	s_and_saveexec_b64 s[18:19], vcc
	s_cbranch_execz .LBB5_379
; %bb.377:
	s_mov_b64 s[20:21], 0
.LBB5_378:                              ; =>This Inner Loop Header: Depth=1
	s_sleep 1
	global_store_dwordx2 v[9:10], v[2:3], off
	v_mov_b32_e32 v0, s10
	v_mov_b32_e32 v1, s11
	s_waitcnt vmcnt(0)
	global_atomic_cmpswap_x2 v[0:1], v13, v[0:3], s[36:37] offset:32 glc
	s_waitcnt vmcnt(0)
	v_cmp_eq_u64_e32 vcc, v[0:1], v[2:3]
	v_mov_b32_e32 v3, v1
	s_or_b64 s[20:21], vcc, s[20:21]
	v_mov_b32_e32 v2, v0
	s_andn2_b64 exec, exec, s[20:21]
	s_cbranch_execnz .LBB5_378
.LBB5_379:
	s_or_b64 exec, exec, s[18:19]
	v_mov_b32_e32 v3, 0
	global_load_dwordx2 v[0:1], v3, s[36:37] offset:16
	s_mov_b64 s[18:19], exec
	v_mbcnt_lo_u32_b32 v2, s18, 0
	v_mbcnt_hi_u32_b32 v2, s19, v2
	v_cmp_eq_u32_e32 vcc, 0, v2
	s_and_saveexec_b64 s[20:21], vcc
	s_cbranch_execz .LBB5_381
; %bb.380:
	s_bcnt1_i32_b64 s15, s[18:19]
	v_mov_b32_e32 v2, s15
	s_waitcnt vmcnt(0)
	global_atomic_add_x2 v[0:1], v[2:3], off offset:8
.LBB5_381:
	s_or_b64 exec, exec, s[20:21]
	s_waitcnt vmcnt(0)
	global_load_dwordx2 v[2:3], v[0:1], off offset:16
	s_waitcnt vmcnt(0)
	v_cmp_eq_u64_e32 vcc, 0, v[2:3]
	s_cbranch_vccnz .LBB5_383
; %bb.382:
	global_load_dword v0, v[0:1], off offset:24
	v_mov_b32_e32 v1, 0
	s_waitcnt vmcnt(0)
	global_store_dwordx2 v[2:3], v[0:1], off
	v_and_b32_e32 v0, 0xffffff, v0
	v_readfirstlane_b32 m0, v0
	s_sendmsg sendmsg(MSG_INTERRUPT)
.LBB5_383:
	s_or_b64 exec, exec, s[16:17]
	s_branch .LBB5_387
.LBB5_384:                              ;   in Loop: Header=BB5_387 Depth=1
	s_or_b64 exec, exec, s[16:17]
	v_readfirstlane_b32 s15, v0
	s_cmp_eq_u32 s15, 0
	s_cbranch_scc1 .LBB5_386
; %bb.385:                              ;   in Loop: Header=BB5_387 Depth=1
	s_sleep 1
	s_cbranch_execnz .LBB5_387
	s_branch .LBB5_389
.LBB5_386:
	s_branch .LBB5_389
.LBB5_387:                              ; =>This Inner Loop Header: Depth=1
	v_mov_b32_e32 v0, 1
	s_and_saveexec_b64 s[16:17], s[4:5]
	s_cbranch_execz .LBB5_384
; %bb.388:                              ;   in Loop: Header=BB5_387 Depth=1
	global_load_dword v0, v[6:7], off offset:20 glc
	s_waitcnt vmcnt(0)
	buffer_wbinvl1_vol
	v_and_b32_e32 v0, 1, v0
	s_branch .LBB5_384
.LBB5_389:
	global_load_dwordx2 v[9:10], v[11:12], off
	s_and_saveexec_b64 s[16:17], s[4:5]
	s_cbranch_execz .LBB5_392
; %bb.390:
	v_mov_b32_e32 v11, 0
	global_load_dwordx2 v[2:3], v11, s[36:37] offset:40
	global_load_dwordx2 v[12:13], v11, s[36:37] offset:24 glc
	global_load_dwordx2 v[6:7], v11, s[36:37]
	v_mov_b32_e32 v1, s11
	s_mov_b64 s[4:5], 0
	s_waitcnt vmcnt(2)
	v_add_co_u32_e32 v14, vcc, 1, v2
	v_addc_co_u32_e32 v15, vcc, 0, v3, vcc
	v_add_co_u32_e32 v0, vcc, s10, v14
	v_addc_co_u32_e32 v1, vcc, v15, v1, vcc
	v_cmp_eq_u64_e32 vcc, 0, v[0:1]
	v_cndmask_b32_e32 v1, v1, v15, vcc
	v_cndmask_b32_e32 v0, v0, v14, vcc
	v_and_b32_e32 v3, v1, v3
	v_and_b32_e32 v2, v0, v2
	v_mul_lo_u32 v3, v3, 24
	v_mul_hi_u32 v14, v2, 24
	v_mul_lo_u32 v15, v2, 24
	s_waitcnt vmcnt(1)
	v_mov_b32_e32 v2, v12
	v_add_u32_e32 v3, v14, v3
	s_waitcnt vmcnt(0)
	v_add_co_u32_e32 v6, vcc, v6, v15
	v_addc_co_u32_e32 v7, vcc, v7, v3, vcc
	global_store_dwordx2 v[6:7], v[12:13], off
	v_mov_b32_e32 v3, v13
	s_waitcnt vmcnt(0)
	global_atomic_cmpswap_x2 v[2:3], v11, v[0:3], s[36:37] offset:24 glc
	s_waitcnt vmcnt(0)
	v_cmp_ne_u64_e32 vcc, v[2:3], v[12:13]
	s_and_b64 exec, exec, vcc
	s_cbranch_execz .LBB5_392
.LBB5_391:                              ; =>This Inner Loop Header: Depth=1
	s_sleep 1
	global_store_dwordx2 v[6:7], v[2:3], off
	s_waitcnt vmcnt(0)
	global_atomic_cmpswap_x2 v[12:13], v11, v[0:3], s[36:37] offset:24 glc
	s_waitcnt vmcnt(0)
	v_cmp_eq_u64_e32 vcc, v[12:13], v[2:3]
	v_mov_b32_e32 v2, v12
	s_or_b64 s[4:5], vcc, s[4:5]
	v_mov_b32_e32 v3, v13
	s_andn2_b64 exec, exec, s[4:5]
	s_cbranch_execnz .LBB5_391
.LBB5_392:
	s_or_b64 exec, exec, s[16:17]
.LBB5_393:
	v_readfirstlane_b32 s4, v51
	v_mov_b32_e32 v6, 0
	v_mov_b32_e32 v7, 0
	v_cmp_eq_u32_e64 s[4:5], s4, v51
	s_and_saveexec_b64 s[10:11], s[4:5]
	s_cbranch_execz .LBB5_399
; %bb.394:
	s_waitcnt vmcnt(0)
	v_mov_b32_e32 v0, 0
	global_load_dwordx2 v[13:14], v0, s[36:37] offset:24 glc
	s_waitcnt vmcnt(0)
	buffer_wbinvl1_vol
	global_load_dwordx2 v[1:2], v0, s[36:37] offset:40
	global_load_dwordx2 v[6:7], v0, s[36:37]
	s_waitcnt vmcnt(1)
	v_and_b32_e32 v1, v1, v13
	v_and_b32_e32 v2, v2, v14
	v_mul_lo_u32 v2, v2, 24
	v_mul_hi_u32 v3, v1, 24
	v_mul_lo_u32 v1, v1, 24
	v_add_u32_e32 v2, v3, v2
	s_waitcnt vmcnt(0)
	v_add_co_u32_e32 v1, vcc, v6, v1
	v_addc_co_u32_e32 v2, vcc, v7, v2, vcc
	global_load_dwordx2 v[11:12], v[1:2], off glc
	s_waitcnt vmcnt(0)
	global_atomic_cmpswap_x2 v[6:7], v0, v[11:14], s[36:37] offset:24 glc
	s_waitcnt vmcnt(0)
	buffer_wbinvl1_vol
	v_cmp_ne_u64_e32 vcc, v[6:7], v[13:14]
	s_and_saveexec_b64 s[16:17], vcc
	s_cbranch_execz .LBB5_398
; %bb.395:
	s_mov_b64 s[18:19], 0
.LBB5_396:                              ; =>This Inner Loop Header: Depth=1
	s_sleep 1
	global_load_dwordx2 v[1:2], v0, s[36:37] offset:40
	global_load_dwordx2 v[11:12], v0, s[36:37]
	v_mov_b32_e32 v14, v7
	v_mov_b32_e32 v13, v6
	s_waitcnt vmcnt(1)
	v_and_b32_e32 v1, v1, v13
	s_waitcnt vmcnt(0)
	v_mad_u64_u32 v[6:7], s[20:21], v1, 24, v[11:12]
	v_and_b32_e32 v2, v2, v14
	v_mov_b32_e32 v1, v7
	v_mad_u64_u32 v[1:2], s[20:21], v2, 24, v[1:2]
	v_mov_b32_e32 v7, v1
	global_load_dwordx2 v[11:12], v[6:7], off glc
	s_waitcnt vmcnt(0)
	global_atomic_cmpswap_x2 v[6:7], v0, v[11:14], s[36:37] offset:24 glc
	s_waitcnt vmcnt(0)
	buffer_wbinvl1_vol
	v_cmp_eq_u64_e32 vcc, v[6:7], v[13:14]
	s_or_b64 s[18:19], vcc, s[18:19]
	s_andn2_b64 exec, exec, s[18:19]
	s_cbranch_execnz .LBB5_396
; %bb.397:
	s_or_b64 exec, exec, s[18:19]
.LBB5_398:
	s_or_b64 exec, exec, s[16:17]
.LBB5_399:
	s_or_b64 exec, exec, s[10:11]
	s_waitcnt vmcnt(0)
	v_mov_b32_e32 v12, 0
	global_load_dwordx2 v[13:14], v12, s[36:37] offset:40
	global_load_dwordx4 v[0:3], v12, s[36:37]
	v_readfirstlane_b32 s10, v6
	v_readfirstlane_b32 s11, v7
	s_mov_b64 s[16:17], exec
	s_waitcnt vmcnt(1)
	v_readfirstlane_b32 s18, v13
	v_readfirstlane_b32 s19, v14
	s_and_b64 s[18:19], s[10:11], s[18:19]
	s_mul_i32 s15, s19, 24
	s_mul_hi_u32 s20, s18, 24
	s_mul_i32 s21, s18, 24
	s_add_i32 s15, s20, s15
	v_mov_b32_e32 v7, s15
	s_waitcnt vmcnt(0)
	v_add_co_u32_e32 v6, vcc, s21, v0
	v_addc_co_u32_e32 v7, vcc, v1, v7, vcc
	s_and_saveexec_b64 s[20:21], s[4:5]
	s_cbranch_execz .LBB5_401
; %bb.400:
	v_mov_b32_e32 v13, s16
	v_mov_b32_e32 v14, s17
	;; [unrolled: 1-line block ×4, first 2 shown]
	global_store_dwordx4 v[6:7], v[13:16], off offset:8
.LBB5_401:
	s_or_b64 exec, exec, s[20:21]
	s_lshl_b64 s[16:17], s[18:19], 12
	v_mov_b32_e32 v11, s17
	v_add_co_u32_e32 v2, vcc, s16, v2
	v_addc_co_u32_e32 v3, vcc, v3, v11, vcc
	s_movk_i32 s15, 0xff1d
	v_and_or_b32 v9, v9, s15, 34
	s_mov_b32 s16, 0
	v_mov_b32_e32 v11, 10
	v_readfirstlane_b32 s20, v2
	v_readfirstlane_b32 s21, v3
	s_mov_b32 s17, s16
	s_mov_b32 s18, s16
	;; [unrolled: 1-line block ×3, first 2 shown]
	s_nop 1
	global_store_dwordx4 v50, v[9:12], s[20:21]
	s_nop 0
	v_mov_b32_e32 v9, s16
	v_mov_b32_e32 v10, s17
	v_mov_b32_e32 v11, s18
	v_mov_b32_e32 v12, s19
	global_store_dwordx4 v50, v[9:12], s[20:21] offset:16
	global_store_dwordx4 v50, v[9:12], s[20:21] offset:32
	;; [unrolled: 1-line block ×3, first 2 shown]
	s_and_saveexec_b64 s[16:17], s[4:5]
	s_cbranch_execz .LBB5_409
; %bb.402:
	v_mov_b32_e32 v11, 0
	global_load_dwordx2 v[14:15], v11, s[36:37] offset:32 glc
	global_load_dwordx2 v[2:3], v11, s[36:37] offset:40
	v_mov_b32_e32 v12, s10
	v_mov_b32_e32 v13, s11
	s_waitcnt vmcnt(0)
	v_readfirstlane_b32 s18, v2
	v_readfirstlane_b32 s19, v3
	s_and_b64 s[18:19], s[18:19], s[10:11]
	s_mul_i32 s15, s19, 24
	s_mul_hi_u32 s19, s18, 24
	s_mul_i32 s18, s18, 24
	s_add_i32 s15, s19, s15
	v_mov_b32_e32 v2, s15
	v_add_co_u32_e32 v9, vcc, s18, v0
	v_addc_co_u32_e32 v10, vcc, v1, v2, vcc
	global_store_dwordx2 v[9:10], v[14:15], off
	s_waitcnt vmcnt(0)
	global_atomic_cmpswap_x2 v[2:3], v11, v[12:15], s[36:37] offset:32 glc
	s_waitcnt vmcnt(0)
	v_cmp_ne_u64_e32 vcc, v[2:3], v[14:15]
	s_and_saveexec_b64 s[18:19], vcc
	s_cbranch_execz .LBB5_405
; %bb.403:
	s_mov_b64 s[20:21], 0
.LBB5_404:                              ; =>This Inner Loop Header: Depth=1
	s_sleep 1
	global_store_dwordx2 v[9:10], v[2:3], off
	v_mov_b32_e32 v0, s10
	v_mov_b32_e32 v1, s11
	s_waitcnt vmcnt(0)
	global_atomic_cmpswap_x2 v[0:1], v11, v[0:3], s[36:37] offset:32 glc
	s_waitcnt vmcnt(0)
	v_cmp_eq_u64_e32 vcc, v[0:1], v[2:3]
	v_mov_b32_e32 v3, v1
	s_or_b64 s[20:21], vcc, s[20:21]
	v_mov_b32_e32 v2, v0
	s_andn2_b64 exec, exec, s[20:21]
	s_cbranch_execnz .LBB5_404
.LBB5_405:
	s_or_b64 exec, exec, s[18:19]
	v_mov_b32_e32 v3, 0
	global_load_dwordx2 v[0:1], v3, s[36:37] offset:16
	s_mov_b64 s[18:19], exec
	v_mbcnt_lo_u32_b32 v2, s18, 0
	v_mbcnt_hi_u32_b32 v2, s19, v2
	v_cmp_eq_u32_e32 vcc, 0, v2
	s_and_saveexec_b64 s[20:21], vcc
	s_cbranch_execz .LBB5_407
; %bb.406:
	s_bcnt1_i32_b64 s15, s[18:19]
	v_mov_b32_e32 v2, s15
	s_waitcnt vmcnt(0)
	global_atomic_add_x2 v[0:1], v[2:3], off offset:8
.LBB5_407:
	s_or_b64 exec, exec, s[20:21]
	s_waitcnt vmcnt(0)
	global_load_dwordx2 v[2:3], v[0:1], off offset:16
	s_waitcnt vmcnt(0)
	v_cmp_eq_u64_e32 vcc, 0, v[2:3]
	s_cbranch_vccnz .LBB5_409
; %bb.408:
	global_load_dword v0, v[0:1], off offset:24
	v_mov_b32_e32 v1, 0
	s_waitcnt vmcnt(0)
	global_store_dwordx2 v[2:3], v[0:1], off
	v_and_b32_e32 v0, 0xffffff, v0
	v_readfirstlane_b32 m0, v0
	s_sendmsg sendmsg(MSG_INTERRUPT)
.LBB5_409:
	s_or_b64 exec, exec, s[16:17]
	s_branch .LBB5_413
.LBB5_410:                              ;   in Loop: Header=BB5_413 Depth=1
	s_or_b64 exec, exec, s[16:17]
	v_readfirstlane_b32 s15, v0
	s_cmp_eq_u32 s15, 0
	s_cbranch_scc1 .LBB5_412
; %bb.411:                              ;   in Loop: Header=BB5_413 Depth=1
	s_sleep 1
	s_cbranch_execnz .LBB5_413
	s_branch .LBB5_415
.LBB5_412:
	s_branch .LBB5_415
.LBB5_413:                              ; =>This Inner Loop Header: Depth=1
	v_mov_b32_e32 v0, 1
	s_and_saveexec_b64 s[16:17], s[4:5]
	s_cbranch_execz .LBB5_410
; %bb.414:                              ;   in Loop: Header=BB5_413 Depth=1
	global_load_dword v0, v[6:7], off offset:20 glc
	s_waitcnt vmcnt(0)
	buffer_wbinvl1_vol
	v_and_b32_e32 v0, 1, v0
	s_branch .LBB5_410
.LBB5_415:
	s_and_saveexec_b64 s[16:17], s[4:5]
	s_cbranch_execz .LBB5_418
; %bb.416:
	v_mov_b32_e32 v9, 0
	global_load_dwordx2 v[2:3], v9, s[36:37] offset:40
	global_load_dwordx2 v[10:11], v9, s[36:37] offset:24 glc
	global_load_dwordx2 v[6:7], v9, s[36:37]
	v_mov_b32_e32 v1, s11
	s_mov_b64 s[4:5], 0
	s_waitcnt vmcnt(2)
	v_add_co_u32_e32 v12, vcc, 1, v2
	v_addc_co_u32_e32 v13, vcc, 0, v3, vcc
	v_add_co_u32_e32 v0, vcc, s10, v12
	v_addc_co_u32_e32 v1, vcc, v13, v1, vcc
	v_cmp_eq_u64_e32 vcc, 0, v[0:1]
	v_cndmask_b32_e32 v1, v1, v13, vcc
	v_cndmask_b32_e32 v0, v0, v12, vcc
	v_and_b32_e32 v3, v1, v3
	v_and_b32_e32 v2, v0, v2
	v_mul_lo_u32 v3, v3, 24
	v_mul_hi_u32 v12, v2, 24
	v_mul_lo_u32 v13, v2, 24
	s_waitcnt vmcnt(1)
	v_mov_b32_e32 v2, v10
	v_add_u32_e32 v3, v12, v3
	s_waitcnt vmcnt(0)
	v_add_co_u32_e32 v6, vcc, v6, v13
	v_addc_co_u32_e32 v7, vcc, v7, v3, vcc
	global_store_dwordx2 v[6:7], v[10:11], off
	v_mov_b32_e32 v3, v11
	s_waitcnt vmcnt(0)
	global_atomic_cmpswap_x2 v[2:3], v9, v[0:3], s[36:37] offset:24 glc
	s_waitcnt vmcnt(0)
	v_cmp_ne_u64_e32 vcc, v[2:3], v[10:11]
	s_and_b64 exec, exec, vcc
	s_cbranch_execz .LBB5_418
.LBB5_417:                              ; =>This Inner Loop Header: Depth=1
	s_sleep 1
	global_store_dwordx2 v[6:7], v[2:3], off
	s_waitcnt vmcnt(0)
	global_atomic_cmpswap_x2 v[10:11], v9, v[0:3], s[36:37] offset:24 glc
	s_waitcnt vmcnt(0)
	v_cmp_eq_u64_e32 vcc, v[10:11], v[2:3]
	v_mov_b32_e32 v2, v10
	s_or_b64 s[4:5], vcc, s[4:5]
	v_mov_b32_e32 v3, v11
	s_andn2_b64 exec, exec, s[4:5]
	s_cbranch_execnz .LBB5_417
.LBB5_418:
	s_or_b64 exec, exec, s[16:17]
	v_readfirstlane_b32 s4, v51
	v_mov_b32_e32 v6, 0
	v_mov_b32_e32 v7, 0
	v_cmp_eq_u32_e64 s[4:5], s4, v51
	s_and_saveexec_b64 s[10:11], s[4:5]
	s_cbranch_execz .LBB5_424
; %bb.419:
	v_mov_b32_e32 v0, 0
	global_load_dwordx2 v[11:12], v0, s[36:37] offset:24 glc
	s_waitcnt vmcnt(0)
	buffer_wbinvl1_vol
	global_load_dwordx2 v[1:2], v0, s[36:37] offset:40
	global_load_dwordx2 v[6:7], v0, s[36:37]
	s_waitcnt vmcnt(1)
	v_and_b32_e32 v1, v1, v11
	v_and_b32_e32 v2, v2, v12
	v_mul_lo_u32 v2, v2, 24
	v_mul_hi_u32 v3, v1, 24
	v_mul_lo_u32 v1, v1, 24
	v_add_u32_e32 v2, v3, v2
	s_waitcnt vmcnt(0)
	v_add_co_u32_e32 v1, vcc, v6, v1
	v_addc_co_u32_e32 v2, vcc, v7, v2, vcc
	global_load_dwordx2 v[9:10], v[1:2], off glc
	s_waitcnt vmcnt(0)
	global_atomic_cmpswap_x2 v[6:7], v0, v[9:12], s[36:37] offset:24 glc
	s_waitcnt vmcnt(0)
	buffer_wbinvl1_vol
	v_cmp_ne_u64_e32 vcc, v[6:7], v[11:12]
	s_and_saveexec_b64 s[16:17], vcc
	s_cbranch_execz .LBB5_423
; %bb.420:
	s_mov_b64 s[18:19], 0
.LBB5_421:                              ; =>This Inner Loop Header: Depth=1
	s_sleep 1
	global_load_dwordx2 v[1:2], v0, s[36:37] offset:40
	global_load_dwordx2 v[9:10], v0, s[36:37]
	v_mov_b32_e32 v12, v7
	v_mov_b32_e32 v11, v6
	s_waitcnt vmcnt(1)
	v_and_b32_e32 v1, v1, v11
	s_waitcnt vmcnt(0)
	v_mad_u64_u32 v[6:7], s[20:21], v1, 24, v[9:10]
	v_and_b32_e32 v2, v2, v12
	v_mov_b32_e32 v1, v7
	v_mad_u64_u32 v[1:2], s[20:21], v2, 24, v[1:2]
	v_mov_b32_e32 v7, v1
	global_load_dwordx2 v[9:10], v[6:7], off glc
	s_waitcnt vmcnt(0)
	global_atomic_cmpswap_x2 v[6:7], v0, v[9:12], s[36:37] offset:24 glc
	s_waitcnt vmcnt(0)
	buffer_wbinvl1_vol
	v_cmp_eq_u64_e32 vcc, v[6:7], v[11:12]
	s_or_b64 s[18:19], vcc, s[18:19]
	s_andn2_b64 exec, exec, s[18:19]
	s_cbranch_execnz .LBB5_421
; %bb.422:
	s_or_b64 exec, exec, s[18:19]
.LBB5_423:
	s_or_b64 exec, exec, s[16:17]
.LBB5_424:
	s_or_b64 exec, exec, s[10:11]
	v_mov_b32_e32 v10, 0
	global_load_dwordx2 v[11:12], v10, s[36:37] offset:40
	global_load_dwordx4 v[0:3], v10, s[36:37]
	v_readfirstlane_b32 s10, v6
	v_readfirstlane_b32 s11, v7
	s_mov_b64 s[16:17], exec
	s_waitcnt vmcnt(1)
	v_readfirstlane_b32 s18, v11
	v_readfirstlane_b32 s19, v12
	s_and_b64 s[18:19], s[10:11], s[18:19]
	s_mul_i32 s15, s19, 24
	s_mul_hi_u32 s20, s18, 24
	s_mul_i32 s21, s18, 24
	s_add_i32 s15, s20, s15
	v_mov_b32_e32 v7, s15
	s_waitcnt vmcnt(0)
	v_add_co_u32_e32 v6, vcc, s21, v0
	v_addc_co_u32_e32 v7, vcc, v1, v7, vcc
	s_and_saveexec_b64 s[20:21], s[4:5]
	s_cbranch_execz .LBB5_426
; %bb.425:
	v_mov_b32_e32 v11, s16
	v_mov_b32_e32 v12, s17
	;; [unrolled: 1-line block ×4, first 2 shown]
	global_store_dwordx4 v[6:7], v[11:14], off offset:8
.LBB5_426:
	s_or_b64 exec, exec, s[20:21]
	s_lshl_b64 s[16:17], s[18:19], 12
	v_mov_b32_e32 v9, s17
	v_add_co_u32_e32 v2, vcc, s16, v2
	v_addc_co_u32_e32 v3, vcc, v3, v9, vcc
	s_mov_b32 s16, 0
	v_mov_b32_e32 v9, 33
	v_mov_b32_e32 v11, v10
	;; [unrolled: 1-line block ×3, first 2 shown]
	v_readfirstlane_b32 s20, v2
	v_readfirstlane_b32 s21, v3
	v_add_co_u32_e32 v13, vcc, v2, v50
	s_mov_b32 s17, s16
	s_mov_b32 s18, s16
	;; [unrolled: 1-line block ×3, first 2 shown]
	s_nop 0
	global_store_dwordx4 v50, v[9:12], s[20:21]
	v_addc_co_u32_e32 v14, vcc, 0, v3, vcc
	v_mov_b32_e32 v9, s16
	v_mov_b32_e32 v10, s17
	;; [unrolled: 1-line block ×4, first 2 shown]
	global_store_dwordx4 v50, v[9:12], s[20:21] offset:16
	global_store_dwordx4 v50, v[9:12], s[20:21] offset:32
	;; [unrolled: 1-line block ×3, first 2 shown]
	s_and_saveexec_b64 s[16:17], s[4:5]
	s_cbranch_execz .LBB5_434
; %bb.427:
	v_mov_b32_e32 v11, 0
	global_load_dwordx2 v[17:18], v11, s[36:37] offset:32 glc
	global_load_dwordx2 v[2:3], v11, s[36:37] offset:40
	v_mov_b32_e32 v15, s10
	v_mov_b32_e32 v16, s11
	s_waitcnt vmcnt(0)
	v_readfirstlane_b32 s18, v2
	v_readfirstlane_b32 s19, v3
	s_and_b64 s[18:19], s[18:19], s[10:11]
	s_mul_i32 s15, s19, 24
	s_mul_hi_u32 s19, s18, 24
	s_mul_i32 s18, s18, 24
	s_add_i32 s15, s19, s15
	v_mov_b32_e32 v2, s15
	v_add_co_u32_e32 v9, vcc, s18, v0
	v_addc_co_u32_e32 v10, vcc, v1, v2, vcc
	global_store_dwordx2 v[9:10], v[17:18], off
	s_waitcnt vmcnt(0)
	global_atomic_cmpswap_x2 v[2:3], v11, v[15:18], s[36:37] offset:32 glc
	s_waitcnt vmcnt(0)
	v_cmp_ne_u64_e32 vcc, v[2:3], v[17:18]
	s_and_saveexec_b64 s[18:19], vcc
	s_cbranch_execz .LBB5_430
; %bb.428:
	s_mov_b64 s[20:21], 0
.LBB5_429:                              ; =>This Inner Loop Header: Depth=1
	s_sleep 1
	global_store_dwordx2 v[9:10], v[2:3], off
	v_mov_b32_e32 v0, s10
	v_mov_b32_e32 v1, s11
	s_waitcnt vmcnt(0)
	global_atomic_cmpswap_x2 v[0:1], v11, v[0:3], s[36:37] offset:32 glc
	s_waitcnt vmcnt(0)
	v_cmp_eq_u64_e32 vcc, v[0:1], v[2:3]
	v_mov_b32_e32 v3, v1
	s_or_b64 s[20:21], vcc, s[20:21]
	v_mov_b32_e32 v2, v0
	s_andn2_b64 exec, exec, s[20:21]
	s_cbranch_execnz .LBB5_429
.LBB5_430:
	s_or_b64 exec, exec, s[18:19]
	v_mov_b32_e32 v3, 0
	global_load_dwordx2 v[0:1], v3, s[36:37] offset:16
	s_mov_b64 s[18:19], exec
	v_mbcnt_lo_u32_b32 v2, s18, 0
	v_mbcnt_hi_u32_b32 v2, s19, v2
	v_cmp_eq_u32_e32 vcc, 0, v2
	s_and_saveexec_b64 s[20:21], vcc
	s_cbranch_execz .LBB5_432
; %bb.431:
	s_bcnt1_i32_b64 s15, s[18:19]
	v_mov_b32_e32 v2, s15
	s_waitcnt vmcnt(0)
	global_atomic_add_x2 v[0:1], v[2:3], off offset:8
.LBB5_432:
	s_or_b64 exec, exec, s[20:21]
	s_waitcnt vmcnt(0)
	global_load_dwordx2 v[2:3], v[0:1], off offset:16
	s_waitcnt vmcnt(0)
	v_cmp_eq_u64_e32 vcc, 0, v[2:3]
	s_cbranch_vccnz .LBB5_434
; %bb.433:
	global_load_dword v0, v[0:1], off offset:24
	v_mov_b32_e32 v1, 0
	s_waitcnt vmcnt(0)
	global_store_dwordx2 v[2:3], v[0:1], off
	v_and_b32_e32 v0, 0xffffff, v0
	v_readfirstlane_b32 m0, v0
	s_sendmsg sendmsg(MSG_INTERRUPT)
.LBB5_434:
	s_or_b64 exec, exec, s[16:17]
	s_branch .LBB5_438
.LBB5_435:                              ;   in Loop: Header=BB5_438 Depth=1
	s_or_b64 exec, exec, s[16:17]
	v_readfirstlane_b32 s15, v0
	s_cmp_eq_u32 s15, 0
	s_cbranch_scc1 .LBB5_437
; %bb.436:                              ;   in Loop: Header=BB5_438 Depth=1
	s_sleep 1
	s_cbranch_execnz .LBB5_438
	s_branch .LBB5_440
.LBB5_437:
	s_branch .LBB5_440
.LBB5_438:                              ; =>This Inner Loop Header: Depth=1
	v_mov_b32_e32 v0, 1
	s_and_saveexec_b64 s[16:17], s[4:5]
	s_cbranch_execz .LBB5_435
; %bb.439:                              ;   in Loop: Header=BB5_438 Depth=1
	global_load_dword v0, v[6:7], off offset:20 glc
	s_waitcnt vmcnt(0)
	buffer_wbinvl1_vol
	v_and_b32_e32 v0, 1, v0
	s_branch .LBB5_435
.LBB5_440:
	global_load_dwordx2 v[9:10], v[13:14], off
	s_and_saveexec_b64 s[16:17], s[4:5]
	s_cbranch_execz .LBB5_443
; %bb.441:
	v_mov_b32_e32 v11, 0
	global_load_dwordx2 v[2:3], v11, s[36:37] offset:40
	global_load_dwordx2 v[12:13], v11, s[36:37] offset:24 glc
	global_load_dwordx2 v[6:7], v11, s[36:37]
	v_mov_b32_e32 v1, s11
	s_mov_b64 s[4:5], 0
	s_waitcnt vmcnt(2)
	v_add_co_u32_e32 v14, vcc, 1, v2
	v_addc_co_u32_e32 v15, vcc, 0, v3, vcc
	v_add_co_u32_e32 v0, vcc, s10, v14
	v_addc_co_u32_e32 v1, vcc, v15, v1, vcc
	v_cmp_eq_u64_e32 vcc, 0, v[0:1]
	v_cndmask_b32_e32 v1, v1, v15, vcc
	v_cndmask_b32_e32 v0, v0, v14, vcc
	v_and_b32_e32 v3, v1, v3
	v_and_b32_e32 v2, v0, v2
	v_mul_lo_u32 v3, v3, 24
	v_mul_hi_u32 v14, v2, 24
	v_mul_lo_u32 v15, v2, 24
	s_waitcnt vmcnt(1)
	v_mov_b32_e32 v2, v12
	v_add_u32_e32 v3, v14, v3
	s_waitcnt vmcnt(0)
	v_add_co_u32_e32 v6, vcc, v6, v15
	v_addc_co_u32_e32 v7, vcc, v7, v3, vcc
	global_store_dwordx2 v[6:7], v[12:13], off
	v_mov_b32_e32 v3, v13
	s_waitcnt vmcnt(0)
	global_atomic_cmpswap_x2 v[2:3], v11, v[0:3], s[36:37] offset:24 glc
	s_waitcnt vmcnt(0)
	v_cmp_ne_u64_e32 vcc, v[2:3], v[12:13]
	s_and_b64 exec, exec, vcc
	s_cbranch_execz .LBB5_443
.LBB5_442:                              ; =>This Inner Loop Header: Depth=1
	s_sleep 1
	global_store_dwordx2 v[6:7], v[2:3], off
	s_waitcnt vmcnt(0)
	global_atomic_cmpswap_x2 v[12:13], v11, v[0:3], s[36:37] offset:24 glc
	s_waitcnt vmcnt(0)
	v_cmp_eq_u64_e32 vcc, v[12:13], v[2:3]
	v_mov_b32_e32 v2, v12
	s_or_b64 s[4:5], vcc, s[4:5]
	v_mov_b32_e32 v3, v13
	s_andn2_b64 exec, exec, s[4:5]
	s_cbranch_execnz .LBB5_442
.LBB5_443:
	s_or_b64 exec, exec, s[16:17]
	s_and_b64 vcc, exec, s[6:7]
	s_cbranch_vccz .LBB5_528
; %bb.444:
	s_waitcnt vmcnt(0)
	v_and_b32_e32 v33, 2, v9
	v_mov_b32_e32 v7, 0
	v_and_b32_e32 v0, -3, v9
	v_mov_b32_e32 v1, v10
	s_mov_b64 s[16:17], 3
	v_mov_b32_e32 v13, 2
	v_mov_b32_e32 v14, 1
	s_getpc_b64 s[10:11]
	s_add_u32 s10, s10, .str.5@rel32@lo+4
	s_addc_u32 s11, s11, .str.5@rel32@hi+12
	s_branch .LBB5_446
.LBB5_445:                              ;   in Loop: Header=BB5_446 Depth=1
	s_or_b64 exec, exec, s[22:23]
	s_sub_u32 s16, s16, s18
	s_subb_u32 s17, s17, s19
	s_add_u32 s10, s10, s18
	s_addc_u32 s11, s11, s19
	s_cmp_lg_u64 s[16:17], 0
	s_cbranch_scc0 .LBB5_527
.LBB5_446:                              ; =>This Loop Header: Depth=1
                                        ;     Child Loop BB5_449 Depth 2
                                        ;     Child Loop BB5_456 Depth 2
	;; [unrolled: 1-line block ×11, first 2 shown]
	v_cmp_lt_u64_e64 s[4:5], s[16:17], 56
	v_cmp_gt_u64_e64 s[20:21], s[16:17], 7
	s_and_b64 s[4:5], s[4:5], exec
	s_cselect_b32 s19, s17, 0
	s_cselect_b32 s18, s16, 56
	s_and_b64 vcc, exec, s[20:21]
	s_cbranch_vccnz .LBB5_451
; %bb.447:                              ;   in Loop: Header=BB5_446 Depth=1
	s_waitcnt vmcnt(0)
	v_mov_b32_e32 v2, 0
	s_cmp_eq_u64 s[16:17], 0
	v_mov_b32_e32 v3, 0
	s_mov_b64 s[4:5], 0
	s_cbranch_scc1 .LBB5_450
; %bb.448:                              ;   in Loop: Header=BB5_446 Depth=1
	v_mov_b32_e32 v2, 0
	s_lshl_b64 s[20:21], s[18:19], 3
	s_mov_b64 s[22:23], 0
	v_mov_b32_e32 v3, 0
	s_mov_b64 s[24:25], s[10:11]
.LBB5_449:                              ;   Parent Loop BB5_446 Depth=1
                                        ; =>  This Inner Loop Header: Depth=2
	global_load_ubyte v6, v7, s[24:25]
	s_waitcnt vmcnt(0)
	v_and_b32_e32 v6, 0xffff, v6
	v_lshlrev_b64 v[11:12], s22, v[6:7]
	s_add_u32 s22, s22, 8
	s_addc_u32 s23, s23, 0
	s_add_u32 s24, s24, 1
	s_addc_u32 s25, s25, 0
	v_or_b32_e32 v2, v11, v2
	s_cmp_lg_u32 s20, s22
	v_or_b32_e32 v3, v12, v3
	s_cbranch_scc1 .LBB5_449
.LBB5_450:                              ;   in Loop: Header=BB5_446 Depth=1
	s_mov_b32 s15, 0
	s_andn2_b64 vcc, exec, s[4:5]
	s_mov_b64 s[4:5], s[10:11]
	s_cbranch_vccz .LBB5_452
	s_branch .LBB5_453
.LBB5_451:                              ;   in Loop: Header=BB5_446 Depth=1
                                        ; implicit-def: $vgpr2_vgpr3
                                        ; implicit-def: $sgpr15
	s_mov_b64 s[4:5], s[10:11]
.LBB5_452:                              ;   in Loop: Header=BB5_446 Depth=1
	global_load_dwordx2 v[2:3], v7, s[10:11]
	s_add_i32 s15, s18, -8
	s_add_u32 s4, s10, 8
	s_addc_u32 s5, s11, 0
.LBB5_453:                              ;   in Loop: Header=BB5_446 Depth=1
	s_cmp_gt_u32 s15, 7
	s_cbranch_scc1 .LBB5_457
; %bb.454:                              ;   in Loop: Header=BB5_446 Depth=1
	s_cmp_eq_u32 s15, 0
	s_cbranch_scc1 .LBB5_458
; %bb.455:                              ;   in Loop: Header=BB5_446 Depth=1
	v_mov_b32_e32 v15, 0
	s_mov_b64 s[20:21], 0
	v_mov_b32_e32 v16, 0
	s_mov_b64 s[22:23], 0
.LBB5_456:                              ;   Parent Loop BB5_446 Depth=1
                                        ; =>  This Inner Loop Header: Depth=2
	s_add_u32 s24, s4, s22
	s_addc_u32 s25, s5, s23
	global_load_ubyte v6, v7, s[24:25]
	s_add_u32 s22, s22, 1
	s_addc_u32 s23, s23, 0
	s_waitcnt vmcnt(0)
	v_and_b32_e32 v6, 0xffff, v6
	v_lshlrev_b64 v[11:12], s20, v[6:7]
	s_add_u32 s20, s20, 8
	s_addc_u32 s21, s21, 0
	v_or_b32_e32 v15, v11, v15
	s_cmp_lg_u32 s15, s22
	v_or_b32_e32 v16, v12, v16
	s_cbranch_scc1 .LBB5_456
	s_branch .LBB5_459
.LBB5_457:                              ;   in Loop: Header=BB5_446 Depth=1
                                        ; implicit-def: $vgpr15_vgpr16
                                        ; implicit-def: $sgpr24
	s_branch .LBB5_460
.LBB5_458:                              ;   in Loop: Header=BB5_446 Depth=1
	v_mov_b32_e32 v15, 0
	v_mov_b32_e32 v16, 0
.LBB5_459:                              ;   in Loop: Header=BB5_446 Depth=1
	s_mov_b32 s24, 0
	s_cbranch_execnz .LBB5_461
.LBB5_460:                              ;   in Loop: Header=BB5_446 Depth=1
	global_load_dwordx2 v[15:16], v7, s[4:5]
	s_add_i32 s24, s15, -8
	s_add_u32 s4, s4, 8
	s_addc_u32 s5, s5, 0
.LBB5_461:                              ;   in Loop: Header=BB5_446 Depth=1
	s_cmp_gt_u32 s24, 7
	s_cbranch_scc1 .LBB5_465
; %bb.462:                              ;   in Loop: Header=BB5_446 Depth=1
	s_cmp_eq_u32 s24, 0
	s_cbranch_scc1 .LBB5_466
; %bb.463:                              ;   in Loop: Header=BB5_446 Depth=1
	v_mov_b32_e32 v17, 0
	s_mov_b64 s[20:21], 0
	v_mov_b32_e32 v18, 0
	s_mov_b64 s[22:23], 0
.LBB5_464:                              ;   Parent Loop BB5_446 Depth=1
                                        ; =>  This Inner Loop Header: Depth=2
	s_add_u32 s26, s4, s22
	s_addc_u32 s27, s5, s23
	global_load_ubyte v6, v7, s[26:27]
	s_add_u32 s22, s22, 1
	s_addc_u32 s23, s23, 0
	s_waitcnt vmcnt(0)
	v_and_b32_e32 v6, 0xffff, v6
	v_lshlrev_b64 v[11:12], s20, v[6:7]
	s_add_u32 s20, s20, 8
	s_addc_u32 s21, s21, 0
	v_or_b32_e32 v17, v11, v17
	s_cmp_lg_u32 s24, s22
	v_or_b32_e32 v18, v12, v18
	s_cbranch_scc1 .LBB5_464
	s_branch .LBB5_467
.LBB5_465:                              ;   in Loop: Header=BB5_446 Depth=1
                                        ; implicit-def: $sgpr15
	s_branch .LBB5_468
.LBB5_466:                              ;   in Loop: Header=BB5_446 Depth=1
	v_mov_b32_e32 v17, 0
	v_mov_b32_e32 v18, 0
.LBB5_467:                              ;   in Loop: Header=BB5_446 Depth=1
	s_mov_b32 s15, 0
	s_cbranch_execnz .LBB5_469
.LBB5_468:                              ;   in Loop: Header=BB5_446 Depth=1
	global_load_dwordx2 v[17:18], v7, s[4:5]
	s_add_i32 s15, s24, -8
	s_add_u32 s4, s4, 8
	s_addc_u32 s5, s5, 0
.LBB5_469:                              ;   in Loop: Header=BB5_446 Depth=1
	s_cmp_gt_u32 s15, 7
	s_cbranch_scc1 .LBB5_473
; %bb.470:                              ;   in Loop: Header=BB5_446 Depth=1
	s_cmp_eq_u32 s15, 0
	s_cbranch_scc1 .LBB5_474
; %bb.471:                              ;   in Loop: Header=BB5_446 Depth=1
	v_mov_b32_e32 v19, 0
	s_mov_b64 s[20:21], 0
	v_mov_b32_e32 v20, 0
	s_mov_b64 s[22:23], 0
.LBB5_472:                              ;   Parent Loop BB5_446 Depth=1
                                        ; =>  This Inner Loop Header: Depth=2
	s_add_u32 s24, s4, s22
	s_addc_u32 s25, s5, s23
	global_load_ubyte v6, v7, s[24:25]
	s_add_u32 s22, s22, 1
	s_addc_u32 s23, s23, 0
	s_waitcnt vmcnt(0)
	v_and_b32_e32 v6, 0xffff, v6
	v_lshlrev_b64 v[11:12], s20, v[6:7]
	s_add_u32 s20, s20, 8
	s_addc_u32 s21, s21, 0
	v_or_b32_e32 v19, v11, v19
	s_cmp_lg_u32 s15, s22
	v_or_b32_e32 v20, v12, v20
	s_cbranch_scc1 .LBB5_472
	s_branch .LBB5_475
.LBB5_473:                              ;   in Loop: Header=BB5_446 Depth=1
                                        ; implicit-def: $vgpr19_vgpr20
                                        ; implicit-def: $sgpr24
	s_branch .LBB5_476
.LBB5_474:                              ;   in Loop: Header=BB5_446 Depth=1
	v_mov_b32_e32 v19, 0
	v_mov_b32_e32 v20, 0
.LBB5_475:                              ;   in Loop: Header=BB5_446 Depth=1
	s_mov_b32 s24, 0
	s_cbranch_execnz .LBB5_477
.LBB5_476:                              ;   in Loop: Header=BB5_446 Depth=1
	global_load_dwordx2 v[19:20], v7, s[4:5]
	s_add_i32 s24, s15, -8
	s_add_u32 s4, s4, 8
	s_addc_u32 s5, s5, 0
.LBB5_477:                              ;   in Loop: Header=BB5_446 Depth=1
	s_cmp_gt_u32 s24, 7
	s_cbranch_scc1 .LBB5_481
; %bb.478:                              ;   in Loop: Header=BB5_446 Depth=1
	s_cmp_eq_u32 s24, 0
	s_cbranch_scc1 .LBB5_482
; %bb.479:                              ;   in Loop: Header=BB5_446 Depth=1
	v_mov_b32_e32 v21, 0
	s_mov_b64 s[20:21], 0
	v_mov_b32_e32 v22, 0
	s_mov_b64 s[22:23], 0
.LBB5_480:                              ;   Parent Loop BB5_446 Depth=1
                                        ; =>  This Inner Loop Header: Depth=2
	s_add_u32 s26, s4, s22
	s_addc_u32 s27, s5, s23
	global_load_ubyte v6, v7, s[26:27]
	s_add_u32 s22, s22, 1
	s_addc_u32 s23, s23, 0
	s_waitcnt vmcnt(0)
	v_and_b32_e32 v6, 0xffff, v6
	v_lshlrev_b64 v[11:12], s20, v[6:7]
	s_add_u32 s20, s20, 8
	s_addc_u32 s21, s21, 0
	v_or_b32_e32 v21, v11, v21
	s_cmp_lg_u32 s24, s22
	v_or_b32_e32 v22, v12, v22
	s_cbranch_scc1 .LBB5_480
	s_branch .LBB5_483
.LBB5_481:                              ;   in Loop: Header=BB5_446 Depth=1
                                        ; implicit-def: $sgpr15
	s_branch .LBB5_484
.LBB5_482:                              ;   in Loop: Header=BB5_446 Depth=1
	v_mov_b32_e32 v21, 0
	v_mov_b32_e32 v22, 0
.LBB5_483:                              ;   in Loop: Header=BB5_446 Depth=1
	s_mov_b32 s15, 0
	s_cbranch_execnz .LBB5_485
.LBB5_484:                              ;   in Loop: Header=BB5_446 Depth=1
	global_load_dwordx2 v[21:22], v7, s[4:5]
	s_add_i32 s15, s24, -8
	s_add_u32 s4, s4, 8
	s_addc_u32 s5, s5, 0
.LBB5_485:                              ;   in Loop: Header=BB5_446 Depth=1
	s_cmp_gt_u32 s15, 7
	s_cbranch_scc1 .LBB5_489
; %bb.486:                              ;   in Loop: Header=BB5_446 Depth=1
	s_cmp_eq_u32 s15, 0
	s_cbranch_scc1 .LBB5_490
; %bb.487:                              ;   in Loop: Header=BB5_446 Depth=1
	v_mov_b32_e32 v23, 0
	s_mov_b64 s[20:21], 0
	v_mov_b32_e32 v24, 0
	s_mov_b64 s[22:23], 0
.LBB5_488:                              ;   Parent Loop BB5_446 Depth=1
                                        ; =>  This Inner Loop Header: Depth=2
	s_add_u32 s24, s4, s22
	s_addc_u32 s25, s5, s23
	global_load_ubyte v6, v7, s[24:25]
	s_add_u32 s22, s22, 1
	s_addc_u32 s23, s23, 0
	s_waitcnt vmcnt(0)
	v_and_b32_e32 v6, 0xffff, v6
	v_lshlrev_b64 v[11:12], s20, v[6:7]
	s_add_u32 s20, s20, 8
	s_addc_u32 s21, s21, 0
	v_or_b32_e32 v23, v11, v23
	s_cmp_lg_u32 s15, s22
	v_or_b32_e32 v24, v12, v24
	s_cbranch_scc1 .LBB5_488
	s_branch .LBB5_491
.LBB5_489:                              ;   in Loop: Header=BB5_446 Depth=1
                                        ; implicit-def: $vgpr23_vgpr24
                                        ; implicit-def: $sgpr24
	s_branch .LBB5_492
.LBB5_490:                              ;   in Loop: Header=BB5_446 Depth=1
	v_mov_b32_e32 v23, 0
	v_mov_b32_e32 v24, 0
.LBB5_491:                              ;   in Loop: Header=BB5_446 Depth=1
	s_mov_b32 s24, 0
	s_cbranch_execnz .LBB5_493
.LBB5_492:                              ;   in Loop: Header=BB5_446 Depth=1
	global_load_dwordx2 v[23:24], v7, s[4:5]
	s_add_i32 s24, s15, -8
	s_add_u32 s4, s4, 8
	s_addc_u32 s5, s5, 0
.LBB5_493:                              ;   in Loop: Header=BB5_446 Depth=1
	s_cmp_gt_u32 s24, 7
	s_cbranch_scc1 .LBB5_497
; %bb.494:                              ;   in Loop: Header=BB5_446 Depth=1
	s_cmp_eq_u32 s24, 0
	s_cbranch_scc1 .LBB5_498
; %bb.495:                              ;   in Loop: Header=BB5_446 Depth=1
	v_mov_b32_e32 v25, 0
	s_mov_b64 s[20:21], 0
	v_mov_b32_e32 v26, 0
	s_mov_b64 s[22:23], s[4:5]
.LBB5_496:                              ;   Parent Loop BB5_446 Depth=1
                                        ; =>  This Inner Loop Header: Depth=2
	global_load_ubyte v6, v7, s[22:23]
	s_add_i32 s24, s24, -1
	s_waitcnt vmcnt(0)
	v_and_b32_e32 v6, 0xffff, v6
	v_lshlrev_b64 v[11:12], s20, v[6:7]
	s_add_u32 s20, s20, 8
	s_addc_u32 s21, s21, 0
	s_add_u32 s22, s22, 1
	s_addc_u32 s23, s23, 0
	v_or_b32_e32 v25, v11, v25
	s_cmp_lg_u32 s24, 0
	v_or_b32_e32 v26, v12, v26
	s_cbranch_scc1 .LBB5_496
	s_branch .LBB5_499
.LBB5_497:                              ;   in Loop: Header=BB5_446 Depth=1
	s_branch .LBB5_500
.LBB5_498:                              ;   in Loop: Header=BB5_446 Depth=1
	v_mov_b32_e32 v25, 0
	v_mov_b32_e32 v26, 0
.LBB5_499:                              ;   in Loop: Header=BB5_446 Depth=1
	s_cbranch_execnz .LBB5_501
.LBB5_500:                              ;   in Loop: Header=BB5_446 Depth=1
	global_load_dwordx2 v[25:26], v7, s[4:5]
.LBB5_501:                              ;   in Loop: Header=BB5_446 Depth=1
	v_readfirstlane_b32 s4, v51
	v_mov_b32_e32 v11, 0
	v_mov_b32_e32 v12, 0
	v_cmp_eq_u32_e64 s[4:5], s4, v51
	s_and_saveexec_b64 s[20:21], s[4:5]
	s_cbranch_execz .LBB5_507
; %bb.502:                              ;   in Loop: Header=BB5_446 Depth=1
	global_load_dwordx2 v[29:30], v7, s[36:37] offset:24 glc
	s_waitcnt vmcnt(0)
	buffer_wbinvl1_vol
	global_load_dwordx2 v[11:12], v7, s[36:37] offset:40
	global_load_dwordx2 v[27:28], v7, s[36:37]
	s_waitcnt vmcnt(1)
	v_and_b32_e32 v6, v11, v29
	v_and_b32_e32 v11, v12, v30
	v_mul_lo_u32 v11, v11, 24
	v_mul_hi_u32 v12, v6, 24
	v_mul_lo_u32 v6, v6, 24
	v_add_u32_e32 v12, v12, v11
	s_waitcnt vmcnt(0)
	v_add_co_u32_e32 v11, vcc, v27, v6
	v_addc_co_u32_e32 v12, vcc, v28, v12, vcc
	global_load_dwordx2 v[27:28], v[11:12], off glc
	s_waitcnt vmcnt(0)
	global_atomic_cmpswap_x2 v[11:12], v7, v[27:30], s[36:37] offset:24 glc
	s_waitcnt vmcnt(0)
	buffer_wbinvl1_vol
	v_cmp_ne_u64_e32 vcc, v[11:12], v[29:30]
	s_and_saveexec_b64 s[22:23], vcc
	s_cbranch_execz .LBB5_506
; %bb.503:                              ;   in Loop: Header=BB5_446 Depth=1
	s_mov_b64 s[24:25], 0
.LBB5_504:                              ;   Parent Loop BB5_446 Depth=1
                                        ; =>  This Inner Loop Header: Depth=2
	s_sleep 1
	global_load_dwordx2 v[27:28], v7, s[36:37] offset:40
	global_load_dwordx2 v[31:32], v7, s[36:37]
	v_mov_b32_e32 v30, v12
	v_mov_b32_e32 v29, v11
	s_waitcnt vmcnt(1)
	v_and_b32_e32 v6, v27, v29
	s_waitcnt vmcnt(0)
	v_mad_u64_u32 v[11:12], s[26:27], v6, 24, v[31:32]
	v_and_b32_e32 v27, v28, v30
	v_mov_b32_e32 v6, v12
	v_mad_u64_u32 v[27:28], s[26:27], v27, 24, v[6:7]
	v_mov_b32_e32 v12, v27
	global_load_dwordx2 v[27:28], v[11:12], off glc
	s_waitcnt vmcnt(0)
	global_atomic_cmpswap_x2 v[11:12], v7, v[27:30], s[36:37] offset:24 glc
	s_waitcnt vmcnt(0)
	buffer_wbinvl1_vol
	v_cmp_eq_u64_e32 vcc, v[11:12], v[29:30]
	s_or_b64 s[24:25], vcc, s[24:25]
	s_andn2_b64 exec, exec, s[24:25]
	s_cbranch_execnz .LBB5_504
; %bb.505:                              ;   in Loop: Header=BB5_446 Depth=1
	s_or_b64 exec, exec, s[24:25]
.LBB5_506:                              ;   in Loop: Header=BB5_446 Depth=1
	s_or_b64 exec, exec, s[22:23]
.LBB5_507:                              ;   in Loop: Header=BB5_446 Depth=1
	s_or_b64 exec, exec, s[20:21]
	global_load_dwordx2 v[31:32], v7, s[36:37] offset:40
	global_load_dwordx4 v[27:30], v7, s[36:37]
	v_readfirstlane_b32 s20, v11
	v_readfirstlane_b32 s21, v12
	s_mov_b64 s[22:23], exec
	s_waitcnt vmcnt(1)
	v_readfirstlane_b32 s24, v31
	v_readfirstlane_b32 s25, v32
	s_and_b64 s[24:25], s[20:21], s[24:25]
	s_mul_i32 s15, s25, 24
	s_mul_hi_u32 s26, s24, 24
	s_mul_i32 s27, s24, 24
	s_add_i32 s15, s26, s15
	v_mov_b32_e32 v6, s15
	s_waitcnt vmcnt(0)
	v_add_co_u32_e32 v31, vcc, s27, v27
	v_addc_co_u32_e32 v32, vcc, v28, v6, vcc
	s_and_saveexec_b64 s[26:27], s[4:5]
	s_cbranch_execz .LBB5_509
; %bb.508:                              ;   in Loop: Header=BB5_446 Depth=1
	v_mov_b32_e32 v11, s22
	v_mov_b32_e32 v12, s23
	global_store_dwordx4 v[31:32], v[11:14], off offset:8
.LBB5_509:                              ;   in Loop: Header=BB5_446 Depth=1
	s_or_b64 exec, exec, s[26:27]
	s_lshl_b64 s[22:23], s[24:25], 12
	v_mov_b32_e32 v6, s23
	v_add_co_u32_e32 v29, vcc, s22, v29
	v_addc_co_u32_e32 v30, vcc, v30, v6, vcc
	v_cmp_gt_u64_e64 vcc, s[16:17], 56
	v_or_b32_e32 v11, v0, v33
	s_lshl_b32 s15, s18, 2
	v_cndmask_b32_e32 v0, v11, v0, vcc
	s_add_i32 s15, s15, 28
	v_or_b32_e32 v6, 0, v1
	s_and_b32 s15, s15, 0x1e0
	v_and_b32_e32 v0, 0xffffff1f, v0
	v_cndmask_b32_e32 v1, v6, v1, vcc
	v_or_b32_e32 v0, s15, v0
	v_readfirstlane_b32 s22, v29
	v_readfirstlane_b32 s23, v30
	s_nop 4
	global_store_dwordx4 v50, v[0:3], s[22:23]
	global_store_dwordx4 v50, v[15:18], s[22:23] offset:16
	global_store_dwordx4 v50, v[19:22], s[22:23] offset:32
	;; [unrolled: 1-line block ×3, first 2 shown]
	s_and_saveexec_b64 s[22:23], s[4:5]
	s_cbranch_execz .LBB5_517
; %bb.510:                              ;   in Loop: Header=BB5_446 Depth=1
	global_load_dwordx2 v[17:18], v7, s[36:37] offset:32 glc
	global_load_dwordx2 v[0:1], v7, s[36:37] offset:40
	v_mov_b32_e32 v15, s20
	v_mov_b32_e32 v16, s21
	s_waitcnt vmcnt(0)
	v_readfirstlane_b32 s24, v0
	v_readfirstlane_b32 s25, v1
	s_and_b64 s[24:25], s[24:25], s[20:21]
	s_mul_i32 s15, s25, 24
	s_mul_hi_u32 s25, s24, 24
	s_mul_i32 s24, s24, 24
	s_add_i32 s15, s25, s15
	v_mov_b32_e32 v0, s15
	v_add_co_u32_e32 v11, vcc, s24, v27
	v_addc_co_u32_e32 v12, vcc, v28, v0, vcc
	global_store_dwordx2 v[11:12], v[17:18], off
	s_waitcnt vmcnt(0)
	global_atomic_cmpswap_x2 v[2:3], v7, v[15:18], s[36:37] offset:32 glc
	s_waitcnt vmcnt(0)
	v_cmp_ne_u64_e32 vcc, v[2:3], v[17:18]
	s_and_saveexec_b64 s[24:25], vcc
	s_cbranch_execz .LBB5_513
; %bb.511:                              ;   in Loop: Header=BB5_446 Depth=1
	s_mov_b64 s[26:27], 0
.LBB5_512:                              ;   Parent Loop BB5_446 Depth=1
                                        ; =>  This Inner Loop Header: Depth=2
	s_sleep 1
	global_store_dwordx2 v[11:12], v[2:3], off
	v_mov_b32_e32 v0, s20
	v_mov_b32_e32 v1, s21
	s_waitcnt vmcnt(0)
	global_atomic_cmpswap_x2 v[0:1], v7, v[0:3], s[36:37] offset:32 glc
	s_waitcnt vmcnt(0)
	v_cmp_eq_u64_e32 vcc, v[0:1], v[2:3]
	v_mov_b32_e32 v3, v1
	s_or_b64 s[26:27], vcc, s[26:27]
	v_mov_b32_e32 v2, v0
	s_andn2_b64 exec, exec, s[26:27]
	s_cbranch_execnz .LBB5_512
.LBB5_513:                              ;   in Loop: Header=BB5_446 Depth=1
	s_or_b64 exec, exec, s[24:25]
	global_load_dwordx2 v[0:1], v7, s[36:37] offset:16
	s_mov_b64 s[26:27], exec
	v_mbcnt_lo_u32_b32 v2, s26, 0
	v_mbcnt_hi_u32_b32 v2, s27, v2
	v_cmp_eq_u32_e32 vcc, 0, v2
	s_and_saveexec_b64 s[24:25], vcc
	s_cbranch_execz .LBB5_515
; %bb.514:                              ;   in Loop: Header=BB5_446 Depth=1
	s_bcnt1_i32_b64 s15, s[26:27]
	v_mov_b32_e32 v6, s15
	s_waitcnt vmcnt(0)
	global_atomic_add_x2 v[0:1], v[6:7], off offset:8
.LBB5_515:                              ;   in Loop: Header=BB5_446 Depth=1
	s_or_b64 exec, exec, s[24:25]
	s_waitcnt vmcnt(0)
	global_load_dwordx2 v[2:3], v[0:1], off offset:16
	s_waitcnt vmcnt(0)
	v_cmp_eq_u64_e32 vcc, 0, v[2:3]
	s_cbranch_vccnz .LBB5_517
; %bb.516:                              ;   in Loop: Header=BB5_446 Depth=1
	global_load_dword v6, v[0:1], off offset:24
	s_waitcnt vmcnt(0)
	v_and_b32_e32 v0, 0xffffff, v6
	v_readfirstlane_b32 m0, v0
	global_store_dwordx2 v[2:3], v[6:7], off
	s_sendmsg sendmsg(MSG_INTERRUPT)
.LBB5_517:                              ;   in Loop: Header=BB5_446 Depth=1
	s_or_b64 exec, exec, s[22:23]
	v_add_co_u32_e32 v0, vcc, v29, v50
	v_addc_co_u32_e32 v1, vcc, 0, v30, vcc
	s_branch .LBB5_521
.LBB5_518:                              ;   in Loop: Header=BB5_521 Depth=2
	s_or_b64 exec, exec, s[22:23]
	v_readfirstlane_b32 s15, v2
	s_cmp_eq_u32 s15, 0
	s_cbranch_scc1 .LBB5_520
; %bb.519:                              ;   in Loop: Header=BB5_521 Depth=2
	s_sleep 1
	s_cbranch_execnz .LBB5_521
	s_branch .LBB5_523
.LBB5_520:                              ;   in Loop: Header=BB5_446 Depth=1
	s_branch .LBB5_523
.LBB5_521:                              ;   Parent Loop BB5_446 Depth=1
                                        ; =>  This Inner Loop Header: Depth=2
	v_mov_b32_e32 v2, 1
	s_and_saveexec_b64 s[22:23], s[4:5]
	s_cbranch_execz .LBB5_518
; %bb.522:                              ;   in Loop: Header=BB5_521 Depth=2
	global_load_dword v2, v[31:32], off offset:20 glc
	s_waitcnt vmcnt(0)
	buffer_wbinvl1_vol
	v_and_b32_e32 v2, 1, v2
	s_branch .LBB5_518
.LBB5_523:                              ;   in Loop: Header=BB5_446 Depth=1
	global_load_dwordx4 v[0:3], v[0:1], off
	s_and_saveexec_b64 s[22:23], s[4:5]
	s_cbranch_execz .LBB5_445
; %bb.524:                              ;   in Loop: Header=BB5_446 Depth=1
	global_load_dwordx2 v[2:3], v7, s[36:37] offset:40
	global_load_dwordx2 v[11:12], v7, s[36:37] offset:24 glc
	global_load_dwordx2 v[18:19], v7, s[36:37]
	v_mov_b32_e32 v6, s21
	s_waitcnt vmcnt(2)
	v_add_co_u32_e32 v17, vcc, 1, v2
	v_addc_co_u32_e32 v20, vcc, 0, v3, vcc
	v_add_co_u32_e32 v15, vcc, s20, v17
	v_addc_co_u32_e32 v16, vcc, v20, v6, vcc
	v_cmp_eq_u64_e32 vcc, 0, v[15:16]
	v_cndmask_b32_e32 v16, v16, v20, vcc
	v_cndmask_b32_e32 v15, v15, v17, vcc
	v_and_b32_e32 v3, v16, v3
	v_and_b32_e32 v2, v15, v2
	v_mul_lo_u32 v3, v3, 24
	v_mul_hi_u32 v6, v2, 24
	v_mul_lo_u32 v2, v2, 24
	s_waitcnt vmcnt(1)
	v_mov_b32_e32 v17, v11
	v_add_u32_e32 v3, v6, v3
	s_waitcnt vmcnt(0)
	v_add_co_u32_e32 v2, vcc, v18, v2
	v_addc_co_u32_e32 v3, vcc, v19, v3, vcc
	global_store_dwordx2 v[2:3], v[11:12], off
	v_mov_b32_e32 v18, v12
	s_waitcnt vmcnt(0)
	global_atomic_cmpswap_x2 v[17:18], v7, v[15:18], s[36:37] offset:24 glc
	s_waitcnt vmcnt(0)
	v_cmp_ne_u64_e32 vcc, v[17:18], v[11:12]
	s_and_b64 exec, exec, vcc
	s_cbranch_execz .LBB5_445
; %bb.525:                              ;   in Loop: Header=BB5_446 Depth=1
	s_mov_b64 s[4:5], 0
.LBB5_526:                              ;   Parent Loop BB5_446 Depth=1
                                        ; =>  This Inner Loop Header: Depth=2
	s_sleep 1
	global_store_dwordx2 v[2:3], v[17:18], off
	s_waitcnt vmcnt(0)
	global_atomic_cmpswap_x2 v[11:12], v7, v[15:18], s[36:37] offset:24 glc
	s_waitcnt vmcnt(0)
	v_cmp_eq_u64_e32 vcc, v[11:12], v[17:18]
	v_mov_b32_e32 v18, v12
	s_or_b64 s[4:5], vcc, s[4:5]
	v_mov_b32_e32 v17, v11
	s_andn2_b64 exec, exec, s[4:5]
	s_cbranch_execnz .LBB5_526
	s_branch .LBB5_445
.LBB5_527:
	s_branch .LBB5_555
.LBB5_528:
                                        ; implicit-def: $vgpr0_vgpr1
	s_cbranch_execz .LBB5_555
; %bb.529:
	v_readfirstlane_b32 s4, v51
	v_mov_b32_e32 v6, 0
	v_mov_b32_e32 v7, 0
	v_cmp_eq_u32_e64 s[4:5], s4, v51
	s_and_saveexec_b64 s[10:11], s[4:5]
	s_cbranch_execz .LBB5_535
; %bb.530:
	s_waitcnt vmcnt(0)
	v_mov_b32_e32 v0, 0
	global_load_dwordx2 v[13:14], v0, s[36:37] offset:24 glc
	s_waitcnt vmcnt(0)
	buffer_wbinvl1_vol
	global_load_dwordx2 v[1:2], v0, s[36:37] offset:40
	global_load_dwordx2 v[6:7], v0, s[36:37]
	s_waitcnt vmcnt(1)
	v_and_b32_e32 v1, v1, v13
	v_and_b32_e32 v2, v2, v14
	v_mul_lo_u32 v2, v2, 24
	v_mul_hi_u32 v3, v1, 24
	v_mul_lo_u32 v1, v1, 24
	v_add_u32_e32 v2, v3, v2
	s_waitcnt vmcnt(0)
	v_add_co_u32_e32 v1, vcc, v6, v1
	v_addc_co_u32_e32 v2, vcc, v7, v2, vcc
	global_load_dwordx2 v[11:12], v[1:2], off glc
	s_waitcnt vmcnt(0)
	global_atomic_cmpswap_x2 v[6:7], v0, v[11:14], s[36:37] offset:24 glc
	s_waitcnt vmcnt(0)
	buffer_wbinvl1_vol
	v_cmp_ne_u64_e32 vcc, v[6:7], v[13:14]
	s_and_saveexec_b64 s[16:17], vcc
	s_cbranch_execz .LBB5_534
; %bb.531:
	s_mov_b64 s[18:19], 0
.LBB5_532:                              ; =>This Inner Loop Header: Depth=1
	s_sleep 1
	global_load_dwordx2 v[1:2], v0, s[36:37] offset:40
	global_load_dwordx2 v[11:12], v0, s[36:37]
	v_mov_b32_e32 v14, v7
	v_mov_b32_e32 v13, v6
	s_waitcnt vmcnt(1)
	v_and_b32_e32 v1, v1, v13
	s_waitcnt vmcnt(0)
	v_mad_u64_u32 v[6:7], s[20:21], v1, 24, v[11:12]
	v_and_b32_e32 v2, v2, v14
	v_mov_b32_e32 v1, v7
	v_mad_u64_u32 v[1:2], s[20:21], v2, 24, v[1:2]
	v_mov_b32_e32 v7, v1
	global_load_dwordx2 v[11:12], v[6:7], off glc
	s_waitcnt vmcnt(0)
	global_atomic_cmpswap_x2 v[6:7], v0, v[11:14], s[36:37] offset:24 glc
	s_waitcnt vmcnt(0)
	buffer_wbinvl1_vol
	v_cmp_eq_u64_e32 vcc, v[6:7], v[13:14]
	s_or_b64 s[18:19], vcc, s[18:19]
	s_andn2_b64 exec, exec, s[18:19]
	s_cbranch_execnz .LBB5_532
; %bb.533:
	s_or_b64 exec, exec, s[18:19]
.LBB5_534:
	s_or_b64 exec, exec, s[16:17]
.LBB5_535:
	s_or_b64 exec, exec, s[10:11]
	v_mov_b32_e32 v11, 0
	global_load_dwordx2 v[12:13], v11, s[36:37] offset:40
	global_load_dwordx4 v[0:3], v11, s[36:37]
	v_readfirstlane_b32 s10, v6
	v_readfirstlane_b32 s11, v7
	s_mov_b64 s[16:17], exec
	s_waitcnt vmcnt(1)
	v_readfirstlane_b32 s18, v12
	v_readfirstlane_b32 s19, v13
	s_and_b64 s[18:19], s[10:11], s[18:19]
	s_mul_i32 s15, s19, 24
	s_mul_hi_u32 s20, s18, 24
	s_mul_i32 s21, s18, 24
	s_add_i32 s15, s20, s15
	v_mov_b32_e32 v7, s15
	s_waitcnt vmcnt(0)
	v_add_co_u32_e32 v6, vcc, s21, v0
	v_addc_co_u32_e32 v7, vcc, v1, v7, vcc
	s_and_saveexec_b64 s[20:21], s[4:5]
	s_cbranch_execz .LBB5_537
; %bb.536:
	v_mov_b32_e32 v12, s16
	v_mov_b32_e32 v13, s17
	;; [unrolled: 1-line block ×4, first 2 shown]
	global_store_dwordx4 v[6:7], v[12:15], off offset:8
.LBB5_537:
	s_or_b64 exec, exec, s[20:21]
	s_lshl_b64 s[16:17], s[18:19], 12
	v_mov_b32_e32 v12, s17
	v_add_co_u32_e32 v2, vcc, s16, v2
	v_addc_co_u32_e32 v3, vcc, v3, v12, vcc
	s_movk_i32 s15, 0xff1f
	v_and_or_b32 v9, v9, s15, 32
	s_mov_b32 s16, 0
	v_mov_b32_e32 v12, v11
	v_readfirstlane_b32 s20, v2
	v_readfirstlane_b32 s21, v3
	v_add_co_u32_e32 v13, vcc, v2, v50
	s_mov_b32 s17, s16
	s_mov_b32 s18, s16
	;; [unrolled: 1-line block ×3, first 2 shown]
	s_nop 0
	global_store_dwordx4 v50, v[9:12], s[20:21]
	v_addc_co_u32_e32 v14, vcc, 0, v3, vcc
	v_mov_b32_e32 v9, s16
	v_mov_b32_e32 v10, s17
	;; [unrolled: 1-line block ×4, first 2 shown]
	global_store_dwordx4 v50, v[9:12], s[20:21] offset:16
	global_store_dwordx4 v50, v[9:12], s[20:21] offset:32
	;; [unrolled: 1-line block ×3, first 2 shown]
	s_and_saveexec_b64 s[16:17], s[4:5]
	s_cbranch_execz .LBB5_545
; %bb.538:
	v_mov_b32_e32 v11, 0
	global_load_dwordx2 v[17:18], v11, s[36:37] offset:32 glc
	global_load_dwordx2 v[2:3], v11, s[36:37] offset:40
	v_mov_b32_e32 v15, s10
	v_mov_b32_e32 v16, s11
	s_waitcnt vmcnt(0)
	v_readfirstlane_b32 s18, v2
	v_readfirstlane_b32 s19, v3
	s_and_b64 s[18:19], s[18:19], s[10:11]
	s_mul_i32 s15, s19, 24
	s_mul_hi_u32 s19, s18, 24
	s_mul_i32 s18, s18, 24
	s_add_i32 s15, s19, s15
	v_mov_b32_e32 v2, s15
	v_add_co_u32_e32 v9, vcc, s18, v0
	v_addc_co_u32_e32 v10, vcc, v1, v2, vcc
	global_store_dwordx2 v[9:10], v[17:18], off
	s_waitcnt vmcnt(0)
	global_atomic_cmpswap_x2 v[2:3], v11, v[15:18], s[36:37] offset:32 glc
	s_waitcnt vmcnt(0)
	v_cmp_ne_u64_e32 vcc, v[2:3], v[17:18]
	s_and_saveexec_b64 s[18:19], vcc
	s_cbranch_execz .LBB5_541
; %bb.539:
	s_mov_b64 s[20:21], 0
.LBB5_540:                              ; =>This Inner Loop Header: Depth=1
	s_sleep 1
	global_store_dwordx2 v[9:10], v[2:3], off
	v_mov_b32_e32 v0, s10
	v_mov_b32_e32 v1, s11
	s_waitcnt vmcnt(0)
	global_atomic_cmpswap_x2 v[0:1], v11, v[0:3], s[36:37] offset:32 glc
	s_waitcnt vmcnt(0)
	v_cmp_eq_u64_e32 vcc, v[0:1], v[2:3]
	v_mov_b32_e32 v3, v1
	s_or_b64 s[20:21], vcc, s[20:21]
	v_mov_b32_e32 v2, v0
	s_andn2_b64 exec, exec, s[20:21]
	s_cbranch_execnz .LBB5_540
.LBB5_541:
	s_or_b64 exec, exec, s[18:19]
	v_mov_b32_e32 v3, 0
	global_load_dwordx2 v[0:1], v3, s[36:37] offset:16
	s_mov_b64 s[18:19], exec
	v_mbcnt_lo_u32_b32 v2, s18, 0
	v_mbcnt_hi_u32_b32 v2, s19, v2
	v_cmp_eq_u32_e32 vcc, 0, v2
	s_and_saveexec_b64 s[20:21], vcc
	s_cbranch_execz .LBB5_543
; %bb.542:
	s_bcnt1_i32_b64 s15, s[18:19]
	v_mov_b32_e32 v2, s15
	s_waitcnt vmcnt(0)
	global_atomic_add_x2 v[0:1], v[2:3], off offset:8
.LBB5_543:
	s_or_b64 exec, exec, s[20:21]
	s_waitcnt vmcnt(0)
	global_load_dwordx2 v[2:3], v[0:1], off offset:16
	s_waitcnt vmcnt(0)
	v_cmp_eq_u64_e32 vcc, 0, v[2:3]
	s_cbranch_vccnz .LBB5_545
; %bb.544:
	global_load_dword v0, v[0:1], off offset:24
	v_mov_b32_e32 v1, 0
	s_waitcnt vmcnt(0)
	global_store_dwordx2 v[2:3], v[0:1], off
	v_and_b32_e32 v0, 0xffffff, v0
	v_readfirstlane_b32 m0, v0
	s_sendmsg sendmsg(MSG_INTERRUPT)
.LBB5_545:
	s_or_b64 exec, exec, s[16:17]
	s_branch .LBB5_549
.LBB5_546:                              ;   in Loop: Header=BB5_549 Depth=1
	s_or_b64 exec, exec, s[16:17]
	v_readfirstlane_b32 s15, v0
	s_cmp_eq_u32 s15, 0
	s_cbranch_scc1 .LBB5_548
; %bb.547:                              ;   in Loop: Header=BB5_549 Depth=1
	s_sleep 1
	s_cbranch_execnz .LBB5_549
	s_branch .LBB5_551
.LBB5_548:
	s_branch .LBB5_551
.LBB5_549:                              ; =>This Inner Loop Header: Depth=1
	v_mov_b32_e32 v0, 1
	s_and_saveexec_b64 s[16:17], s[4:5]
	s_cbranch_execz .LBB5_546
; %bb.550:                              ;   in Loop: Header=BB5_549 Depth=1
	global_load_dword v0, v[6:7], off offset:20 glc
	s_waitcnt vmcnt(0)
	buffer_wbinvl1_vol
	v_and_b32_e32 v0, 1, v0
	s_branch .LBB5_546
.LBB5_551:
	global_load_dwordx2 v[0:1], v[13:14], off
	s_and_saveexec_b64 s[16:17], s[4:5]
	s_cbranch_execz .LBB5_554
; %bb.552:
	v_mov_b32_e32 v6, 0
	global_load_dwordx2 v[2:3], v6, s[36:37] offset:40
	global_load_dwordx2 v[13:14], v6, s[36:37] offset:24 glc
	global_load_dwordx2 v[15:16], v6, s[36:37]
	v_mov_b32_e32 v7, s11
	s_mov_b64 s[4:5], 0
	s_waitcnt vmcnt(2)
	v_add_co_u32_e32 v11, vcc, 1, v2
	v_addc_co_u32_e32 v12, vcc, 0, v3, vcc
	v_add_co_u32_e32 v9, vcc, s10, v11
	v_addc_co_u32_e32 v10, vcc, v12, v7, vcc
	v_cmp_eq_u64_e32 vcc, 0, v[9:10]
	v_cndmask_b32_e32 v10, v10, v12, vcc
	v_cndmask_b32_e32 v9, v9, v11, vcc
	v_and_b32_e32 v3, v10, v3
	v_and_b32_e32 v2, v9, v2
	v_mul_lo_u32 v3, v3, 24
	v_mul_hi_u32 v7, v2, 24
	v_mul_lo_u32 v2, v2, 24
	s_waitcnt vmcnt(1)
	v_mov_b32_e32 v11, v13
	v_mov_b32_e32 v12, v14
	v_add_u32_e32 v3, v7, v3
	s_waitcnt vmcnt(0)
	v_add_co_u32_e32 v2, vcc, v15, v2
	v_addc_co_u32_e32 v3, vcc, v16, v3, vcc
	global_store_dwordx2 v[2:3], v[13:14], off
	s_waitcnt vmcnt(0)
	global_atomic_cmpswap_x2 v[11:12], v6, v[9:12], s[36:37] offset:24 glc
	s_waitcnt vmcnt(0)
	v_cmp_ne_u64_e32 vcc, v[11:12], v[13:14]
	s_and_b64 exec, exec, vcc
	s_cbranch_execz .LBB5_554
.LBB5_553:                              ; =>This Inner Loop Header: Depth=1
	s_sleep 1
	global_store_dwordx2 v[2:3], v[11:12], off
	s_waitcnt vmcnt(0)
	global_atomic_cmpswap_x2 v[13:14], v6, v[9:12], s[36:37] offset:24 glc
	s_waitcnt vmcnt(0)
	v_cmp_eq_u64_e32 vcc, v[13:14], v[11:12]
	v_mov_b32_e32 v11, v13
	s_or_b64 s[4:5], vcc, s[4:5]
	v_mov_b32_e32 v12, v14
	s_andn2_b64 exec, exec, s[4:5]
	s_cbranch_execnz .LBB5_553
.LBB5_554:
	s_or_b64 exec, exec, s[16:17]
.LBB5_555:
	s_getpc_b64 s[10:11]
	s_add_u32 s10, s10, .str.1@rel32@lo+4
	s_addc_u32 s11, s11, .str.1@rel32@hi+12
	s_cmp_lg_u64 s[10:11], 0
	s_cbranch_scc0 .LBB5_640
; %bb.556:
	s_waitcnt vmcnt(0)
	v_and_b32_e32 v13, -3, v0
	v_mov_b32_e32 v14, v1
	s_mov_b64 s[16:17], 0x53
	v_mov_b32_e32 v3, 0
	v_mov_b32_e32 v11, 2
	;; [unrolled: 1-line block ×3, first 2 shown]
	s_branch .LBB5_558
.LBB5_557:                              ;   in Loop: Header=BB5_558 Depth=1
	s_or_b64 exec, exec, s[22:23]
	s_sub_u32 s16, s16, s18
	s_subb_u32 s17, s17, s19
	s_add_u32 s10, s10, s18
	s_addc_u32 s11, s11, s19
	s_cmp_lg_u64 s[16:17], 0
	s_cbranch_scc0 .LBB5_639
.LBB5_558:                              ; =>This Loop Header: Depth=1
                                        ;     Child Loop BB5_561 Depth 2
                                        ;     Child Loop BB5_568 Depth 2
	;; [unrolled: 1-line block ×11, first 2 shown]
	v_cmp_lt_u64_e64 s[4:5], s[16:17], 56
	v_cmp_gt_u64_e64 s[20:21], s[16:17], 7
	s_and_b64 s[4:5], s[4:5], exec
	s_cselect_b32 s19, s17, 0
	s_cselect_b32 s18, s16, 56
	s_and_b64 vcc, exec, s[20:21]
	s_cbranch_vccnz .LBB5_563
; %bb.559:                              ;   in Loop: Header=BB5_558 Depth=1
	s_waitcnt vmcnt(0)
	v_mov_b32_e32 v15, 0
	s_cmp_eq_u64 s[16:17], 0
	v_mov_b32_e32 v16, 0
	s_mov_b64 s[4:5], 0
	s_cbranch_scc1 .LBB5_562
; %bb.560:                              ;   in Loop: Header=BB5_558 Depth=1
	v_mov_b32_e32 v15, 0
	s_lshl_b64 s[20:21], s[18:19], 3
	s_mov_b64 s[22:23], 0
	v_mov_b32_e32 v16, 0
	s_mov_b64 s[24:25], s[10:11]
.LBB5_561:                              ;   Parent Loop BB5_558 Depth=1
                                        ; =>  This Inner Loop Header: Depth=2
	global_load_ubyte v2, v3, s[24:25]
	s_waitcnt vmcnt(0)
	v_and_b32_e32 v2, 0xffff, v2
	v_lshlrev_b64 v[6:7], s22, v[2:3]
	s_add_u32 s22, s22, 8
	s_addc_u32 s23, s23, 0
	s_add_u32 s24, s24, 1
	s_addc_u32 s25, s25, 0
	v_or_b32_e32 v15, v6, v15
	s_cmp_lg_u32 s20, s22
	v_or_b32_e32 v16, v7, v16
	s_cbranch_scc1 .LBB5_561
.LBB5_562:                              ;   in Loop: Header=BB5_558 Depth=1
	s_mov_b32 s15, 0
	s_andn2_b64 vcc, exec, s[4:5]
	s_mov_b64 s[4:5], s[10:11]
	s_cbranch_vccz .LBB5_564
	s_branch .LBB5_565
.LBB5_563:                              ;   in Loop: Header=BB5_558 Depth=1
                                        ; implicit-def: $sgpr15
	s_mov_b64 s[4:5], s[10:11]
.LBB5_564:                              ;   in Loop: Header=BB5_558 Depth=1
	global_load_dwordx2 v[15:16], v3, s[10:11]
	s_add_i32 s15, s18, -8
	s_add_u32 s4, s10, 8
	s_addc_u32 s5, s11, 0
.LBB5_565:                              ;   in Loop: Header=BB5_558 Depth=1
	s_cmp_gt_u32 s15, 7
	s_cbranch_scc1 .LBB5_569
; %bb.566:                              ;   in Loop: Header=BB5_558 Depth=1
	s_cmp_eq_u32 s15, 0
	s_cbranch_scc1 .LBB5_570
; %bb.567:                              ;   in Loop: Header=BB5_558 Depth=1
	v_mov_b32_e32 v17, 0
	s_mov_b64 s[20:21], 0
	v_mov_b32_e32 v18, 0
	s_mov_b64 s[22:23], 0
.LBB5_568:                              ;   Parent Loop BB5_558 Depth=1
                                        ; =>  This Inner Loop Header: Depth=2
	s_add_u32 s24, s4, s22
	s_addc_u32 s25, s5, s23
	global_load_ubyte v2, v3, s[24:25]
	s_add_u32 s22, s22, 1
	s_addc_u32 s23, s23, 0
	s_waitcnt vmcnt(0)
	v_and_b32_e32 v2, 0xffff, v2
	v_lshlrev_b64 v[6:7], s20, v[2:3]
	s_add_u32 s20, s20, 8
	s_addc_u32 s21, s21, 0
	v_or_b32_e32 v17, v6, v17
	s_cmp_lg_u32 s15, s22
	v_or_b32_e32 v18, v7, v18
	s_cbranch_scc1 .LBB5_568
	s_branch .LBB5_571
.LBB5_569:                              ;   in Loop: Header=BB5_558 Depth=1
                                        ; implicit-def: $vgpr17_vgpr18
                                        ; implicit-def: $sgpr24
	s_branch .LBB5_572
.LBB5_570:                              ;   in Loop: Header=BB5_558 Depth=1
	v_mov_b32_e32 v17, 0
	v_mov_b32_e32 v18, 0
.LBB5_571:                              ;   in Loop: Header=BB5_558 Depth=1
	s_mov_b32 s24, 0
	s_cbranch_execnz .LBB5_573
.LBB5_572:                              ;   in Loop: Header=BB5_558 Depth=1
	global_load_dwordx2 v[17:18], v3, s[4:5]
	s_add_i32 s24, s15, -8
	s_add_u32 s4, s4, 8
	s_addc_u32 s5, s5, 0
.LBB5_573:                              ;   in Loop: Header=BB5_558 Depth=1
	s_cmp_gt_u32 s24, 7
	s_cbranch_scc1 .LBB5_577
; %bb.574:                              ;   in Loop: Header=BB5_558 Depth=1
	s_cmp_eq_u32 s24, 0
	s_cbranch_scc1 .LBB5_578
; %bb.575:                              ;   in Loop: Header=BB5_558 Depth=1
	v_mov_b32_e32 v19, 0
	s_mov_b64 s[20:21], 0
	v_mov_b32_e32 v20, 0
	s_mov_b64 s[22:23], 0
.LBB5_576:                              ;   Parent Loop BB5_558 Depth=1
                                        ; =>  This Inner Loop Header: Depth=2
	s_add_u32 s26, s4, s22
	s_addc_u32 s27, s5, s23
	global_load_ubyte v2, v3, s[26:27]
	s_add_u32 s22, s22, 1
	s_addc_u32 s23, s23, 0
	s_waitcnt vmcnt(0)
	v_and_b32_e32 v2, 0xffff, v2
	v_lshlrev_b64 v[6:7], s20, v[2:3]
	s_add_u32 s20, s20, 8
	s_addc_u32 s21, s21, 0
	v_or_b32_e32 v19, v6, v19
	s_cmp_lg_u32 s24, s22
	v_or_b32_e32 v20, v7, v20
	s_cbranch_scc1 .LBB5_576
	s_branch .LBB5_579
.LBB5_577:                              ;   in Loop: Header=BB5_558 Depth=1
                                        ; implicit-def: $sgpr15
	s_branch .LBB5_580
.LBB5_578:                              ;   in Loop: Header=BB5_558 Depth=1
	v_mov_b32_e32 v19, 0
	v_mov_b32_e32 v20, 0
.LBB5_579:                              ;   in Loop: Header=BB5_558 Depth=1
	s_mov_b32 s15, 0
	s_cbranch_execnz .LBB5_581
.LBB5_580:                              ;   in Loop: Header=BB5_558 Depth=1
	global_load_dwordx2 v[19:20], v3, s[4:5]
	s_add_i32 s15, s24, -8
	s_add_u32 s4, s4, 8
	s_addc_u32 s5, s5, 0
.LBB5_581:                              ;   in Loop: Header=BB5_558 Depth=1
	s_cmp_gt_u32 s15, 7
	s_cbranch_scc1 .LBB5_585
; %bb.582:                              ;   in Loop: Header=BB5_558 Depth=1
	s_cmp_eq_u32 s15, 0
	s_cbranch_scc1 .LBB5_586
; %bb.583:                              ;   in Loop: Header=BB5_558 Depth=1
	v_mov_b32_e32 v21, 0
	s_mov_b64 s[20:21], 0
	v_mov_b32_e32 v22, 0
	s_mov_b64 s[22:23], 0
.LBB5_584:                              ;   Parent Loop BB5_558 Depth=1
                                        ; =>  This Inner Loop Header: Depth=2
	s_add_u32 s24, s4, s22
	s_addc_u32 s25, s5, s23
	global_load_ubyte v2, v3, s[24:25]
	s_add_u32 s22, s22, 1
	s_addc_u32 s23, s23, 0
	s_waitcnt vmcnt(0)
	v_and_b32_e32 v2, 0xffff, v2
	v_lshlrev_b64 v[6:7], s20, v[2:3]
	s_add_u32 s20, s20, 8
	s_addc_u32 s21, s21, 0
	v_or_b32_e32 v21, v6, v21
	s_cmp_lg_u32 s15, s22
	v_or_b32_e32 v22, v7, v22
	s_cbranch_scc1 .LBB5_584
	s_branch .LBB5_587
.LBB5_585:                              ;   in Loop: Header=BB5_558 Depth=1
                                        ; implicit-def: $vgpr21_vgpr22
                                        ; implicit-def: $sgpr24
	s_branch .LBB5_588
.LBB5_586:                              ;   in Loop: Header=BB5_558 Depth=1
	v_mov_b32_e32 v21, 0
	v_mov_b32_e32 v22, 0
.LBB5_587:                              ;   in Loop: Header=BB5_558 Depth=1
	s_mov_b32 s24, 0
	s_cbranch_execnz .LBB5_589
.LBB5_588:                              ;   in Loop: Header=BB5_558 Depth=1
	global_load_dwordx2 v[21:22], v3, s[4:5]
	s_add_i32 s24, s15, -8
	s_add_u32 s4, s4, 8
	s_addc_u32 s5, s5, 0
.LBB5_589:                              ;   in Loop: Header=BB5_558 Depth=1
	s_cmp_gt_u32 s24, 7
	s_cbranch_scc1 .LBB5_593
; %bb.590:                              ;   in Loop: Header=BB5_558 Depth=1
	s_cmp_eq_u32 s24, 0
	s_cbranch_scc1 .LBB5_594
; %bb.591:                              ;   in Loop: Header=BB5_558 Depth=1
	v_mov_b32_e32 v23, 0
	s_mov_b64 s[20:21], 0
	v_mov_b32_e32 v24, 0
	s_mov_b64 s[22:23], 0
.LBB5_592:                              ;   Parent Loop BB5_558 Depth=1
                                        ; =>  This Inner Loop Header: Depth=2
	s_add_u32 s26, s4, s22
	s_addc_u32 s27, s5, s23
	global_load_ubyte v2, v3, s[26:27]
	s_add_u32 s22, s22, 1
	s_addc_u32 s23, s23, 0
	s_waitcnt vmcnt(0)
	v_and_b32_e32 v2, 0xffff, v2
	v_lshlrev_b64 v[6:7], s20, v[2:3]
	s_add_u32 s20, s20, 8
	s_addc_u32 s21, s21, 0
	v_or_b32_e32 v23, v6, v23
	s_cmp_lg_u32 s24, s22
	v_or_b32_e32 v24, v7, v24
	s_cbranch_scc1 .LBB5_592
	s_branch .LBB5_595
.LBB5_593:                              ;   in Loop: Header=BB5_558 Depth=1
                                        ; implicit-def: $sgpr15
	s_branch .LBB5_596
.LBB5_594:                              ;   in Loop: Header=BB5_558 Depth=1
	v_mov_b32_e32 v23, 0
	v_mov_b32_e32 v24, 0
.LBB5_595:                              ;   in Loop: Header=BB5_558 Depth=1
	s_mov_b32 s15, 0
	s_cbranch_execnz .LBB5_597
.LBB5_596:                              ;   in Loop: Header=BB5_558 Depth=1
	global_load_dwordx2 v[23:24], v3, s[4:5]
	s_add_i32 s15, s24, -8
	s_add_u32 s4, s4, 8
	s_addc_u32 s5, s5, 0
.LBB5_597:                              ;   in Loop: Header=BB5_558 Depth=1
	s_cmp_gt_u32 s15, 7
	s_cbranch_scc1 .LBB5_601
; %bb.598:                              ;   in Loop: Header=BB5_558 Depth=1
	s_cmp_eq_u32 s15, 0
	s_cbranch_scc1 .LBB5_602
; %bb.599:                              ;   in Loop: Header=BB5_558 Depth=1
	v_mov_b32_e32 v25, 0
	s_mov_b64 s[20:21], 0
	v_mov_b32_e32 v26, 0
	s_mov_b64 s[22:23], 0
.LBB5_600:                              ;   Parent Loop BB5_558 Depth=1
                                        ; =>  This Inner Loop Header: Depth=2
	s_add_u32 s24, s4, s22
	s_addc_u32 s25, s5, s23
	global_load_ubyte v2, v3, s[24:25]
	s_add_u32 s22, s22, 1
	s_addc_u32 s23, s23, 0
	s_waitcnt vmcnt(0)
	v_and_b32_e32 v2, 0xffff, v2
	v_lshlrev_b64 v[6:7], s20, v[2:3]
	s_add_u32 s20, s20, 8
	s_addc_u32 s21, s21, 0
	v_or_b32_e32 v25, v6, v25
	s_cmp_lg_u32 s15, s22
	v_or_b32_e32 v26, v7, v26
	s_cbranch_scc1 .LBB5_600
	s_branch .LBB5_603
.LBB5_601:                              ;   in Loop: Header=BB5_558 Depth=1
                                        ; implicit-def: $vgpr25_vgpr26
                                        ; implicit-def: $sgpr24
	s_branch .LBB5_604
.LBB5_602:                              ;   in Loop: Header=BB5_558 Depth=1
	v_mov_b32_e32 v25, 0
	v_mov_b32_e32 v26, 0
.LBB5_603:                              ;   in Loop: Header=BB5_558 Depth=1
	s_mov_b32 s24, 0
	s_cbranch_execnz .LBB5_605
.LBB5_604:                              ;   in Loop: Header=BB5_558 Depth=1
	global_load_dwordx2 v[25:26], v3, s[4:5]
	s_add_i32 s24, s15, -8
	s_add_u32 s4, s4, 8
	s_addc_u32 s5, s5, 0
.LBB5_605:                              ;   in Loop: Header=BB5_558 Depth=1
	s_cmp_gt_u32 s24, 7
	s_cbranch_scc1 .LBB5_609
; %bb.606:                              ;   in Loop: Header=BB5_558 Depth=1
	s_cmp_eq_u32 s24, 0
	s_cbranch_scc1 .LBB5_610
; %bb.607:                              ;   in Loop: Header=BB5_558 Depth=1
	v_mov_b32_e32 v27, 0
	s_mov_b64 s[20:21], 0
	v_mov_b32_e32 v28, 0
	s_mov_b64 s[22:23], s[4:5]
.LBB5_608:                              ;   Parent Loop BB5_558 Depth=1
                                        ; =>  This Inner Loop Header: Depth=2
	global_load_ubyte v2, v3, s[22:23]
	s_add_i32 s24, s24, -1
	s_waitcnt vmcnt(0)
	v_and_b32_e32 v2, 0xffff, v2
	v_lshlrev_b64 v[6:7], s20, v[2:3]
	s_add_u32 s20, s20, 8
	s_addc_u32 s21, s21, 0
	s_add_u32 s22, s22, 1
	s_addc_u32 s23, s23, 0
	v_or_b32_e32 v27, v6, v27
	s_cmp_lg_u32 s24, 0
	v_or_b32_e32 v28, v7, v28
	s_cbranch_scc1 .LBB5_608
	s_branch .LBB5_611
.LBB5_609:                              ;   in Loop: Header=BB5_558 Depth=1
	s_branch .LBB5_612
.LBB5_610:                              ;   in Loop: Header=BB5_558 Depth=1
	v_mov_b32_e32 v27, 0
	v_mov_b32_e32 v28, 0
.LBB5_611:                              ;   in Loop: Header=BB5_558 Depth=1
	s_cbranch_execnz .LBB5_613
.LBB5_612:                              ;   in Loop: Header=BB5_558 Depth=1
	global_load_dwordx2 v[27:28], v3, s[4:5]
.LBB5_613:                              ;   in Loop: Header=BB5_558 Depth=1
	v_readfirstlane_b32 s4, v51
	v_mov_b32_e32 v6, 0
	v_mov_b32_e32 v7, 0
	v_cmp_eq_u32_e64 s[4:5], s4, v51
	s_and_saveexec_b64 s[20:21], s[4:5]
	s_cbranch_execz .LBB5_619
; %bb.614:                              ;   in Loop: Header=BB5_558 Depth=1
	global_load_dwordx2 v[31:32], v3, s[36:37] offset:24 glc
	s_waitcnt vmcnt(0)
	buffer_wbinvl1_vol
	global_load_dwordx2 v[6:7], v3, s[36:37] offset:40
	global_load_dwordx2 v[9:10], v3, s[36:37]
	s_waitcnt vmcnt(1)
	v_and_b32_e32 v2, v6, v31
	v_and_b32_e32 v6, v7, v32
	v_mul_lo_u32 v6, v6, 24
	v_mul_hi_u32 v7, v2, 24
	v_mul_lo_u32 v2, v2, 24
	v_add_u32_e32 v7, v7, v6
	s_waitcnt vmcnt(0)
	v_add_co_u32_e32 v6, vcc, v9, v2
	v_addc_co_u32_e32 v7, vcc, v10, v7, vcc
	global_load_dwordx2 v[29:30], v[6:7], off glc
	s_waitcnt vmcnt(0)
	global_atomic_cmpswap_x2 v[6:7], v3, v[29:32], s[36:37] offset:24 glc
	s_waitcnt vmcnt(0)
	buffer_wbinvl1_vol
	v_cmp_ne_u64_e32 vcc, v[6:7], v[31:32]
	s_and_saveexec_b64 s[22:23], vcc
	s_cbranch_execz .LBB5_618
; %bb.615:                              ;   in Loop: Header=BB5_558 Depth=1
	s_mov_b64 s[24:25], 0
.LBB5_616:                              ;   Parent Loop BB5_558 Depth=1
                                        ; =>  This Inner Loop Header: Depth=2
	s_sleep 1
	global_load_dwordx2 v[9:10], v3, s[36:37] offset:40
	global_load_dwordx2 v[29:30], v3, s[36:37]
	v_mov_b32_e32 v32, v7
	v_mov_b32_e32 v31, v6
	s_waitcnt vmcnt(1)
	v_and_b32_e32 v2, v9, v31
	s_waitcnt vmcnt(0)
	v_mad_u64_u32 v[6:7], s[26:27], v2, 24, v[29:30]
	v_and_b32_e32 v9, v10, v32
	v_mov_b32_e32 v2, v7
	v_mad_u64_u32 v[9:10], s[26:27], v9, 24, v[2:3]
	v_mov_b32_e32 v7, v9
	global_load_dwordx2 v[29:30], v[6:7], off glc
	s_waitcnt vmcnt(0)
	global_atomic_cmpswap_x2 v[6:7], v3, v[29:32], s[36:37] offset:24 glc
	s_waitcnt vmcnt(0)
	buffer_wbinvl1_vol
	v_cmp_eq_u64_e32 vcc, v[6:7], v[31:32]
	s_or_b64 s[24:25], vcc, s[24:25]
	s_andn2_b64 exec, exec, s[24:25]
	s_cbranch_execnz .LBB5_616
; %bb.617:                              ;   in Loop: Header=BB5_558 Depth=1
	s_or_b64 exec, exec, s[24:25]
.LBB5_618:                              ;   in Loop: Header=BB5_558 Depth=1
	s_or_b64 exec, exec, s[22:23]
.LBB5_619:                              ;   in Loop: Header=BB5_558 Depth=1
	s_or_b64 exec, exec, s[20:21]
	global_load_dwordx2 v[9:10], v3, s[36:37] offset:40
	global_load_dwordx4 v[29:32], v3, s[36:37]
	v_readfirstlane_b32 s20, v6
	v_readfirstlane_b32 s21, v7
	s_mov_b64 s[22:23], exec
	s_waitcnt vmcnt(1)
	v_readfirstlane_b32 s24, v9
	v_readfirstlane_b32 s25, v10
	s_and_b64 s[24:25], s[20:21], s[24:25]
	s_mul_i32 s15, s25, 24
	s_mul_hi_u32 s26, s24, 24
	s_mul_i32 s27, s24, 24
	s_add_i32 s15, s26, s15
	v_mov_b32_e32 v2, s15
	s_waitcnt vmcnt(0)
	v_add_co_u32_e32 v6, vcc, s27, v29
	v_addc_co_u32_e32 v7, vcc, v30, v2, vcc
	s_and_saveexec_b64 s[26:27], s[4:5]
	s_cbranch_execz .LBB5_621
; %bb.620:                              ;   in Loop: Header=BB5_558 Depth=1
	v_mov_b32_e32 v9, s22
	v_mov_b32_e32 v10, s23
	global_store_dwordx4 v[6:7], v[9:12], off offset:8
.LBB5_621:                              ;   in Loop: Header=BB5_558 Depth=1
	s_or_b64 exec, exec, s[26:27]
	s_lshl_b64 s[22:23], s[24:25], 12
	v_mov_b32_e32 v2, s23
	v_add_co_u32_e32 v31, vcc, s22, v31
	v_addc_co_u32_e32 v32, vcc, v32, v2, vcc
	v_cmp_gt_u64_e64 vcc, s[16:17], 56
	v_or_b32_e32 v2, 2, v13
	s_lshl_b32 s15, s18, 2
	v_cndmask_b32_e32 v2, v2, v13, vcc
	s_add_i32 s15, s15, 28
	s_and_b32 s15, s15, 0x1e0
	v_and_b32_e32 v2, 0xffffff1f, v2
	v_or_b32_e32 v13, s15, v2
	v_readfirstlane_b32 s22, v31
	v_readfirstlane_b32 s23, v32
	s_nop 4
	global_store_dwordx4 v50, v[13:16], s[22:23]
	global_store_dwordx4 v50, v[17:20], s[22:23] offset:16
	global_store_dwordx4 v50, v[21:24], s[22:23] offset:32
	;; [unrolled: 1-line block ×3, first 2 shown]
	s_and_saveexec_b64 s[22:23], s[4:5]
	s_cbranch_execz .LBB5_629
; %bb.622:                              ;   in Loop: Header=BB5_558 Depth=1
	global_load_dwordx2 v[17:18], v3, s[36:37] offset:32 glc
	global_load_dwordx2 v[9:10], v3, s[36:37] offset:40
	v_mov_b32_e32 v15, s20
	v_mov_b32_e32 v16, s21
	s_waitcnt vmcnt(0)
	v_readfirstlane_b32 s24, v9
	v_readfirstlane_b32 s25, v10
	s_and_b64 s[24:25], s[24:25], s[20:21]
	s_mul_i32 s15, s25, 24
	s_mul_hi_u32 s25, s24, 24
	s_mul_i32 s24, s24, 24
	s_add_i32 s15, s25, s15
	v_mov_b32_e32 v2, s15
	v_add_co_u32_e32 v9, vcc, s24, v29
	v_addc_co_u32_e32 v10, vcc, v30, v2, vcc
	global_store_dwordx2 v[9:10], v[17:18], off
	s_waitcnt vmcnt(0)
	global_atomic_cmpswap_x2 v[15:16], v3, v[15:18], s[36:37] offset:32 glc
	s_waitcnt vmcnt(0)
	v_cmp_ne_u64_e32 vcc, v[15:16], v[17:18]
	s_and_saveexec_b64 s[24:25], vcc
	s_cbranch_execz .LBB5_625
; %bb.623:                              ;   in Loop: Header=BB5_558 Depth=1
	s_mov_b64 s[26:27], 0
.LBB5_624:                              ;   Parent Loop BB5_558 Depth=1
                                        ; =>  This Inner Loop Header: Depth=2
	s_sleep 1
	global_store_dwordx2 v[9:10], v[15:16], off
	v_mov_b32_e32 v13, s20
	v_mov_b32_e32 v14, s21
	s_waitcnt vmcnt(0)
	global_atomic_cmpswap_x2 v[13:14], v3, v[13:16], s[36:37] offset:32 glc
	s_waitcnt vmcnt(0)
	v_cmp_eq_u64_e32 vcc, v[13:14], v[15:16]
	v_mov_b32_e32 v16, v14
	s_or_b64 s[26:27], vcc, s[26:27]
	v_mov_b32_e32 v15, v13
	s_andn2_b64 exec, exec, s[26:27]
	s_cbranch_execnz .LBB5_624
.LBB5_625:                              ;   in Loop: Header=BB5_558 Depth=1
	s_or_b64 exec, exec, s[24:25]
	global_load_dwordx2 v[9:10], v3, s[36:37] offset:16
	s_mov_b64 s[26:27], exec
	v_mbcnt_lo_u32_b32 v2, s26, 0
	v_mbcnt_hi_u32_b32 v2, s27, v2
	v_cmp_eq_u32_e32 vcc, 0, v2
	s_and_saveexec_b64 s[24:25], vcc
	s_cbranch_execz .LBB5_627
; %bb.626:                              ;   in Loop: Header=BB5_558 Depth=1
	s_bcnt1_i32_b64 s15, s[26:27]
	v_mov_b32_e32 v2, s15
	s_waitcnt vmcnt(0)
	global_atomic_add_x2 v[9:10], v[2:3], off offset:8
.LBB5_627:                              ;   in Loop: Header=BB5_558 Depth=1
	s_or_b64 exec, exec, s[24:25]
	s_waitcnt vmcnt(0)
	global_load_dwordx2 v[13:14], v[9:10], off offset:16
	s_waitcnt vmcnt(0)
	v_cmp_eq_u64_e32 vcc, 0, v[13:14]
	s_cbranch_vccnz .LBB5_629
; %bb.628:                              ;   in Loop: Header=BB5_558 Depth=1
	global_load_dword v2, v[9:10], off offset:24
	s_waitcnt vmcnt(0)
	global_store_dwordx2 v[13:14], v[2:3], off
	v_and_b32_e32 v2, 0xffffff, v2
	v_readfirstlane_b32 m0, v2
	s_sendmsg sendmsg(MSG_INTERRUPT)
.LBB5_629:                              ;   in Loop: Header=BB5_558 Depth=1
	s_or_b64 exec, exec, s[22:23]
	v_add_co_u32_e32 v9, vcc, v31, v50
	v_addc_co_u32_e32 v10, vcc, 0, v32, vcc
	s_branch .LBB5_633
.LBB5_630:                              ;   in Loop: Header=BB5_633 Depth=2
	s_or_b64 exec, exec, s[22:23]
	v_readfirstlane_b32 s15, v2
	s_cmp_eq_u32 s15, 0
	s_cbranch_scc1 .LBB5_632
; %bb.631:                              ;   in Loop: Header=BB5_633 Depth=2
	s_sleep 1
	s_cbranch_execnz .LBB5_633
	s_branch .LBB5_635
.LBB5_632:                              ;   in Loop: Header=BB5_558 Depth=1
	s_branch .LBB5_635
.LBB5_633:                              ;   Parent Loop BB5_558 Depth=1
                                        ; =>  This Inner Loop Header: Depth=2
	v_mov_b32_e32 v2, 1
	s_and_saveexec_b64 s[22:23], s[4:5]
	s_cbranch_execz .LBB5_630
; %bb.634:                              ;   in Loop: Header=BB5_633 Depth=2
	global_load_dword v2, v[6:7], off offset:20 glc
	s_waitcnt vmcnt(0)
	buffer_wbinvl1_vol
	v_and_b32_e32 v2, 1, v2
	s_branch .LBB5_630
.LBB5_635:                              ;   in Loop: Header=BB5_558 Depth=1
	global_load_dwordx4 v[13:16], v[9:10], off
	s_and_saveexec_b64 s[22:23], s[4:5]
	s_cbranch_execz .LBB5_557
; %bb.636:                              ;   in Loop: Header=BB5_558 Depth=1
	global_load_dwordx2 v[6:7], v3, s[36:37] offset:40
	global_load_dwordx2 v[9:10], v3, s[36:37] offset:24 glc
	global_load_dwordx2 v[18:19], v3, s[36:37]
	v_mov_b32_e32 v2, s21
	s_waitcnt vmcnt(2)
	v_add_co_u32_e32 v17, vcc, 1, v6
	v_addc_co_u32_e32 v20, vcc, 0, v7, vcc
	v_add_co_u32_e32 v15, vcc, s20, v17
	v_addc_co_u32_e32 v16, vcc, v20, v2, vcc
	v_cmp_eq_u64_e32 vcc, 0, v[15:16]
	v_cndmask_b32_e32 v16, v16, v20, vcc
	v_cndmask_b32_e32 v15, v15, v17, vcc
	v_and_b32_e32 v2, v16, v7
	v_and_b32_e32 v6, v15, v6
	v_mul_lo_u32 v2, v2, 24
	v_mul_hi_u32 v7, v6, 24
	v_mul_lo_u32 v6, v6, 24
	s_waitcnt vmcnt(1)
	v_mov_b32_e32 v17, v9
	v_add_u32_e32 v2, v7, v2
	s_waitcnt vmcnt(0)
	v_add_co_u32_e32 v6, vcc, v18, v6
	v_addc_co_u32_e32 v7, vcc, v19, v2, vcc
	global_store_dwordx2 v[6:7], v[9:10], off
	v_mov_b32_e32 v18, v10
	s_waitcnt vmcnt(0)
	global_atomic_cmpswap_x2 v[17:18], v3, v[15:18], s[36:37] offset:24 glc
	s_waitcnt vmcnt(0)
	v_cmp_ne_u64_e32 vcc, v[17:18], v[9:10]
	s_and_b64 exec, exec, vcc
	s_cbranch_execz .LBB5_557
; %bb.637:                              ;   in Loop: Header=BB5_558 Depth=1
	s_mov_b64 s[4:5], 0
.LBB5_638:                              ;   Parent Loop BB5_558 Depth=1
                                        ; =>  This Inner Loop Header: Depth=2
	s_sleep 1
	global_store_dwordx2 v[6:7], v[17:18], off
	s_waitcnt vmcnt(0)
	global_atomic_cmpswap_x2 v[9:10], v3, v[15:18], s[36:37] offset:24 glc
	s_waitcnt vmcnt(0)
	v_cmp_eq_u64_e32 vcc, v[9:10], v[17:18]
	v_mov_b32_e32 v18, v10
	s_or_b64 s[4:5], vcc, s[4:5]
	v_mov_b32_e32 v17, v9
	s_andn2_b64 exec, exec, s[4:5]
	s_cbranch_execnz .LBB5_638
	s_branch .LBB5_557
.LBB5_639:
	s_branch .LBB5_667
.LBB5_640:
	s_cbranch_execz .LBB5_667
; %bb.641:
	v_readfirstlane_b32 s4, v51
	v_mov_b32_e32 v6, 0
	v_mov_b32_e32 v7, 0
	v_cmp_eq_u32_e64 s[4:5], s4, v51
	s_and_saveexec_b64 s[10:11], s[4:5]
	s_cbranch_execz .LBB5_647
; %bb.642:
	s_waitcnt vmcnt(0)
	v_mov_b32_e32 v2, 0
	global_load_dwordx2 v[11:12], v2, s[36:37] offset:24 glc
	s_waitcnt vmcnt(0)
	buffer_wbinvl1_vol
	global_load_dwordx2 v[6:7], v2, s[36:37] offset:40
	global_load_dwordx2 v[9:10], v2, s[36:37]
	s_waitcnt vmcnt(1)
	v_and_b32_e32 v3, v6, v11
	v_and_b32_e32 v6, v7, v12
	v_mul_lo_u32 v6, v6, 24
	v_mul_hi_u32 v7, v3, 24
	v_mul_lo_u32 v3, v3, 24
	v_add_u32_e32 v7, v7, v6
	s_waitcnt vmcnt(0)
	v_add_co_u32_e32 v6, vcc, v9, v3
	v_addc_co_u32_e32 v7, vcc, v10, v7, vcc
	global_load_dwordx2 v[9:10], v[6:7], off glc
	s_waitcnt vmcnt(0)
	global_atomic_cmpswap_x2 v[6:7], v2, v[9:12], s[36:37] offset:24 glc
	s_waitcnt vmcnt(0)
	buffer_wbinvl1_vol
	v_cmp_ne_u64_e32 vcc, v[6:7], v[11:12]
	s_and_saveexec_b64 s[16:17], vcc
	s_cbranch_execz .LBB5_646
; %bb.643:
	s_mov_b64 s[18:19], 0
.LBB5_644:                              ; =>This Inner Loop Header: Depth=1
	s_sleep 1
	global_load_dwordx2 v[9:10], v2, s[36:37] offset:40
	global_load_dwordx2 v[13:14], v2, s[36:37]
	v_mov_b32_e32 v12, v7
	v_mov_b32_e32 v11, v6
	s_waitcnt vmcnt(1)
	v_and_b32_e32 v3, v9, v11
	s_waitcnt vmcnt(0)
	v_mad_u64_u32 v[6:7], s[20:21], v3, 24, v[13:14]
	v_and_b32_e32 v9, v10, v12
	v_mov_b32_e32 v3, v7
	v_mad_u64_u32 v[9:10], s[20:21], v9, 24, v[3:4]
	v_mov_b32_e32 v7, v9
	global_load_dwordx2 v[9:10], v[6:7], off glc
	s_waitcnt vmcnt(0)
	global_atomic_cmpswap_x2 v[6:7], v2, v[9:12], s[36:37] offset:24 glc
	s_waitcnt vmcnt(0)
	buffer_wbinvl1_vol
	v_cmp_eq_u64_e32 vcc, v[6:7], v[11:12]
	s_or_b64 s[18:19], vcc, s[18:19]
	s_andn2_b64 exec, exec, s[18:19]
	s_cbranch_execnz .LBB5_644
; %bb.645:
	s_or_b64 exec, exec, s[18:19]
.LBB5_646:
	s_or_b64 exec, exec, s[16:17]
.LBB5_647:
	s_or_b64 exec, exec, s[10:11]
	s_waitcnt vmcnt(0)
	v_mov_b32_e32 v2, 0
	global_load_dwordx2 v[13:14], v2, s[36:37] offset:40
	global_load_dwordx4 v[9:12], v2, s[36:37]
	v_readfirstlane_b32 s10, v6
	v_readfirstlane_b32 s11, v7
	s_mov_b64 s[16:17], exec
	s_waitcnt vmcnt(1)
	v_readfirstlane_b32 s18, v13
	v_readfirstlane_b32 s19, v14
	s_and_b64 s[18:19], s[10:11], s[18:19]
	s_mul_i32 s15, s19, 24
	s_mul_hi_u32 s20, s18, 24
	s_mul_i32 s21, s18, 24
	s_add_i32 s15, s20, s15
	v_mov_b32_e32 v3, s15
	s_waitcnt vmcnt(0)
	v_add_co_u32_e32 v6, vcc, s21, v9
	v_addc_co_u32_e32 v7, vcc, v10, v3, vcc
	s_and_saveexec_b64 s[20:21], s[4:5]
	s_cbranch_execz .LBB5_649
; %bb.648:
	v_mov_b32_e32 v13, s16
	v_mov_b32_e32 v14, s17
	;; [unrolled: 1-line block ×4, first 2 shown]
	global_store_dwordx4 v[6:7], v[13:16], off offset:8
.LBB5_649:
	s_or_b64 exec, exec, s[20:21]
	s_lshl_b64 s[16:17], s[18:19], 12
	v_mov_b32_e32 v3, s17
	v_add_co_u32_e32 v11, vcc, s16, v11
	v_addc_co_u32_e32 v12, vcc, v12, v3, vcc
	s_movk_i32 s15, 0xff1d
	v_and_or_b32 v0, v0, s15, 34
	s_mov_b32 s16, 0
	v_mov_b32_e32 v3, v2
	v_readfirstlane_b32 s20, v11
	v_readfirstlane_b32 s21, v12
	s_mov_b32 s17, s16
	s_mov_b32 s18, s16
	;; [unrolled: 1-line block ×3, first 2 shown]
	s_nop 1
	global_store_dwordx4 v50, v[0:3], s[20:21]
	s_nop 0
	v_mov_b32_e32 v0, s16
	v_mov_b32_e32 v1, s17
	;; [unrolled: 1-line block ×4, first 2 shown]
	global_store_dwordx4 v50, v[0:3], s[20:21] offset:16
	global_store_dwordx4 v50, v[0:3], s[20:21] offset:32
	;; [unrolled: 1-line block ×3, first 2 shown]
	s_and_saveexec_b64 s[16:17], s[4:5]
	s_cbranch_execz .LBB5_657
; %bb.650:
	v_mov_b32_e32 v11, 0
	global_load_dwordx2 v[14:15], v11, s[36:37] offset:32 glc
	global_load_dwordx2 v[0:1], v11, s[36:37] offset:40
	v_mov_b32_e32 v12, s10
	v_mov_b32_e32 v13, s11
	s_waitcnt vmcnt(0)
	v_readfirstlane_b32 s18, v0
	v_readfirstlane_b32 s19, v1
	s_and_b64 s[18:19], s[18:19], s[10:11]
	s_mul_i32 s15, s19, 24
	s_mul_hi_u32 s19, s18, 24
	s_mul_i32 s18, s18, 24
	s_add_i32 s15, s19, s15
	v_mov_b32_e32 v0, s15
	v_add_co_u32_e32 v9, vcc, s18, v9
	v_addc_co_u32_e32 v10, vcc, v10, v0, vcc
	global_store_dwordx2 v[9:10], v[14:15], off
	s_waitcnt vmcnt(0)
	global_atomic_cmpswap_x2 v[2:3], v11, v[12:15], s[36:37] offset:32 glc
	s_waitcnt vmcnt(0)
	v_cmp_ne_u64_e32 vcc, v[2:3], v[14:15]
	s_and_saveexec_b64 s[18:19], vcc
	s_cbranch_execz .LBB5_653
; %bb.651:
	s_mov_b64 s[20:21], 0
.LBB5_652:                              ; =>This Inner Loop Header: Depth=1
	s_sleep 1
	global_store_dwordx2 v[9:10], v[2:3], off
	v_mov_b32_e32 v0, s10
	v_mov_b32_e32 v1, s11
	s_waitcnt vmcnt(0)
	global_atomic_cmpswap_x2 v[0:1], v11, v[0:3], s[36:37] offset:32 glc
	s_waitcnt vmcnt(0)
	v_cmp_eq_u64_e32 vcc, v[0:1], v[2:3]
	v_mov_b32_e32 v3, v1
	s_or_b64 s[20:21], vcc, s[20:21]
	v_mov_b32_e32 v2, v0
	s_andn2_b64 exec, exec, s[20:21]
	s_cbranch_execnz .LBB5_652
.LBB5_653:
	s_or_b64 exec, exec, s[18:19]
	v_mov_b32_e32 v3, 0
	global_load_dwordx2 v[0:1], v3, s[36:37] offset:16
	s_mov_b64 s[18:19], exec
	v_mbcnt_lo_u32_b32 v2, s18, 0
	v_mbcnt_hi_u32_b32 v2, s19, v2
	v_cmp_eq_u32_e32 vcc, 0, v2
	s_and_saveexec_b64 s[20:21], vcc
	s_cbranch_execz .LBB5_655
; %bb.654:
	s_bcnt1_i32_b64 s15, s[18:19]
	v_mov_b32_e32 v2, s15
	s_waitcnt vmcnt(0)
	global_atomic_add_x2 v[0:1], v[2:3], off offset:8
.LBB5_655:
	s_or_b64 exec, exec, s[20:21]
	s_waitcnt vmcnt(0)
	global_load_dwordx2 v[2:3], v[0:1], off offset:16
	s_waitcnt vmcnt(0)
	v_cmp_eq_u64_e32 vcc, 0, v[2:3]
	s_cbranch_vccnz .LBB5_657
; %bb.656:
	global_load_dword v0, v[0:1], off offset:24
	v_mov_b32_e32 v1, 0
	s_waitcnt vmcnt(0)
	global_store_dwordx2 v[2:3], v[0:1], off
	v_and_b32_e32 v0, 0xffffff, v0
	v_readfirstlane_b32 m0, v0
	s_sendmsg sendmsg(MSG_INTERRUPT)
.LBB5_657:
	s_or_b64 exec, exec, s[16:17]
	s_branch .LBB5_661
.LBB5_658:                              ;   in Loop: Header=BB5_661 Depth=1
	s_or_b64 exec, exec, s[16:17]
	v_readfirstlane_b32 s15, v0
	s_cmp_eq_u32 s15, 0
	s_cbranch_scc1 .LBB5_660
; %bb.659:                              ;   in Loop: Header=BB5_661 Depth=1
	s_sleep 1
	s_cbranch_execnz .LBB5_661
	s_branch .LBB5_663
.LBB5_660:
	s_branch .LBB5_663
.LBB5_661:                              ; =>This Inner Loop Header: Depth=1
	v_mov_b32_e32 v0, 1
	s_and_saveexec_b64 s[16:17], s[4:5]
	s_cbranch_execz .LBB5_658
; %bb.662:                              ;   in Loop: Header=BB5_661 Depth=1
	global_load_dword v0, v[6:7], off offset:20 glc
	s_waitcnt vmcnt(0)
	buffer_wbinvl1_vol
	v_and_b32_e32 v0, 1, v0
	s_branch .LBB5_658
.LBB5_663:
	s_and_saveexec_b64 s[16:17], s[4:5]
	s_cbranch_execz .LBB5_666
; %bb.664:
	v_mov_b32_e32 v9, 0
	global_load_dwordx2 v[2:3], v9, s[36:37] offset:40
	global_load_dwordx2 v[10:11], v9, s[36:37] offset:24 glc
	global_load_dwordx2 v[6:7], v9, s[36:37]
	v_mov_b32_e32 v1, s11
	s_mov_b64 s[4:5], 0
	s_waitcnt vmcnt(2)
	v_add_co_u32_e32 v12, vcc, 1, v2
	v_addc_co_u32_e32 v13, vcc, 0, v3, vcc
	v_add_co_u32_e32 v0, vcc, s10, v12
	v_addc_co_u32_e32 v1, vcc, v13, v1, vcc
	v_cmp_eq_u64_e32 vcc, 0, v[0:1]
	v_cndmask_b32_e32 v1, v1, v13, vcc
	v_cndmask_b32_e32 v0, v0, v12, vcc
	v_and_b32_e32 v3, v1, v3
	v_and_b32_e32 v2, v0, v2
	v_mul_lo_u32 v3, v3, 24
	v_mul_hi_u32 v12, v2, 24
	v_mul_lo_u32 v13, v2, 24
	s_waitcnt vmcnt(1)
	v_mov_b32_e32 v2, v10
	v_add_u32_e32 v3, v12, v3
	s_waitcnt vmcnt(0)
	v_add_co_u32_e32 v6, vcc, v6, v13
	v_addc_co_u32_e32 v7, vcc, v7, v3, vcc
	global_store_dwordx2 v[6:7], v[10:11], off
	v_mov_b32_e32 v3, v11
	s_waitcnt vmcnt(0)
	global_atomic_cmpswap_x2 v[2:3], v9, v[0:3], s[36:37] offset:24 glc
	s_waitcnt vmcnt(0)
	v_cmp_ne_u64_e32 vcc, v[2:3], v[10:11]
	s_and_b64 exec, exec, vcc
	s_cbranch_execz .LBB5_666
.LBB5_665:                              ; =>This Inner Loop Header: Depth=1
	s_sleep 1
	global_store_dwordx2 v[6:7], v[2:3], off
	s_waitcnt vmcnt(0)
	global_atomic_cmpswap_x2 v[10:11], v9, v[0:3], s[36:37] offset:24 glc
	s_waitcnt vmcnt(0)
	v_cmp_eq_u64_e32 vcc, v[10:11], v[2:3]
	v_mov_b32_e32 v2, v10
	s_or_b64 s[4:5], vcc, s[4:5]
	v_mov_b32_e32 v3, v11
	s_andn2_b64 exec, exec, s[4:5]
	s_cbranch_execnz .LBB5_665
.LBB5_666:
	s_or_b64 exec, exec, s[16:17]
.LBB5_667:
	v_readfirstlane_b32 s4, v51
	v_mov_b32_e32 v6, 0
	v_mov_b32_e32 v7, 0
	v_cmp_eq_u32_e64 s[4:5], s4, v51
	s_and_saveexec_b64 s[10:11], s[4:5]
	s_cbranch_execz .LBB5_673
; %bb.668:
	s_waitcnt vmcnt(0)
	v_mov_b32_e32 v0, 0
	global_load_dwordx2 v[11:12], v0, s[36:37] offset:24 glc
	s_waitcnt vmcnt(0)
	buffer_wbinvl1_vol
	global_load_dwordx2 v[1:2], v0, s[36:37] offset:40
	global_load_dwordx2 v[6:7], v0, s[36:37]
	s_waitcnt vmcnt(1)
	v_and_b32_e32 v1, v1, v11
	v_and_b32_e32 v2, v2, v12
	v_mul_lo_u32 v2, v2, 24
	v_mul_hi_u32 v3, v1, 24
	v_mul_lo_u32 v1, v1, 24
	v_add_u32_e32 v2, v3, v2
	s_waitcnt vmcnt(0)
	v_add_co_u32_e32 v1, vcc, v6, v1
	v_addc_co_u32_e32 v2, vcc, v7, v2, vcc
	global_load_dwordx2 v[9:10], v[1:2], off glc
	s_waitcnt vmcnt(0)
	global_atomic_cmpswap_x2 v[6:7], v0, v[9:12], s[36:37] offset:24 glc
	s_waitcnt vmcnt(0)
	buffer_wbinvl1_vol
	v_cmp_ne_u64_e32 vcc, v[6:7], v[11:12]
	s_and_saveexec_b64 s[16:17], vcc
	s_cbranch_execz .LBB5_672
; %bb.669:
	s_mov_b64 s[18:19], 0
.LBB5_670:                              ; =>This Inner Loop Header: Depth=1
	s_sleep 1
	global_load_dwordx2 v[1:2], v0, s[36:37] offset:40
	global_load_dwordx2 v[9:10], v0, s[36:37]
	v_mov_b32_e32 v12, v7
	v_mov_b32_e32 v11, v6
	s_waitcnt vmcnt(1)
	v_and_b32_e32 v1, v1, v11
	s_waitcnt vmcnt(0)
	v_mad_u64_u32 v[6:7], s[20:21], v1, 24, v[9:10]
	v_and_b32_e32 v2, v2, v12
	v_mov_b32_e32 v1, v7
	v_mad_u64_u32 v[1:2], s[20:21], v2, 24, v[1:2]
	v_mov_b32_e32 v7, v1
	global_load_dwordx2 v[9:10], v[6:7], off glc
	s_waitcnt vmcnt(0)
	global_atomic_cmpswap_x2 v[6:7], v0, v[9:12], s[36:37] offset:24 glc
	s_waitcnt vmcnt(0)
	buffer_wbinvl1_vol
	v_cmp_eq_u64_e32 vcc, v[6:7], v[11:12]
	s_or_b64 s[18:19], vcc, s[18:19]
	s_andn2_b64 exec, exec, s[18:19]
	s_cbranch_execnz .LBB5_670
; %bb.671:
	s_or_b64 exec, exec, s[18:19]
.LBB5_672:
	s_or_b64 exec, exec, s[16:17]
.LBB5_673:
	s_or_b64 exec, exec, s[10:11]
	s_waitcnt vmcnt(0)
	v_mov_b32_e32 v10, 0
	global_load_dwordx2 v[11:12], v10, s[36:37] offset:40
	global_load_dwordx4 v[0:3], v10, s[36:37]
	v_readfirstlane_b32 s10, v6
	v_readfirstlane_b32 s11, v7
	s_mov_b64 s[16:17], exec
	s_waitcnt vmcnt(1)
	v_readfirstlane_b32 s18, v11
	v_readfirstlane_b32 s19, v12
	s_and_b64 s[18:19], s[10:11], s[18:19]
	s_mul_i32 s15, s19, 24
	s_mul_hi_u32 s20, s18, 24
	s_mul_i32 s21, s18, 24
	s_add_i32 s15, s20, s15
	v_mov_b32_e32 v7, s15
	s_waitcnt vmcnt(0)
	v_add_co_u32_e32 v6, vcc, s21, v0
	v_addc_co_u32_e32 v7, vcc, v1, v7, vcc
	s_and_saveexec_b64 s[20:21], s[4:5]
	s_cbranch_execz .LBB5_675
; %bb.674:
	v_mov_b32_e32 v11, s16
	v_mov_b32_e32 v12, s17
	;; [unrolled: 1-line block ×4, first 2 shown]
	global_store_dwordx4 v[6:7], v[11:14], off offset:8
.LBB5_675:
	s_or_b64 exec, exec, s[20:21]
	s_lshl_b64 s[16:17], s[18:19], 12
	v_mov_b32_e32 v9, s17
	v_add_co_u32_e32 v2, vcc, s16, v2
	v_addc_co_u32_e32 v3, vcc, v3, v9, vcc
	s_mov_b32 s16, 0
	v_mov_b32_e32 v9, 33
	v_mov_b32_e32 v11, v10
	;; [unrolled: 1-line block ×3, first 2 shown]
	v_readfirstlane_b32 s20, v2
	v_readfirstlane_b32 s21, v3
	v_add_co_u32_e32 v13, vcc, v2, v50
	s_mov_b32 s17, s16
	s_mov_b32 s18, s16
	;; [unrolled: 1-line block ×3, first 2 shown]
	s_nop 0
	global_store_dwordx4 v50, v[9:12], s[20:21]
	v_addc_co_u32_e32 v14, vcc, 0, v3, vcc
	v_mov_b32_e32 v9, s16
	v_mov_b32_e32 v10, s17
	;; [unrolled: 1-line block ×4, first 2 shown]
	global_store_dwordx4 v50, v[9:12], s[20:21] offset:16
	global_store_dwordx4 v50, v[9:12], s[20:21] offset:32
	;; [unrolled: 1-line block ×3, first 2 shown]
	s_and_saveexec_b64 s[16:17], s[4:5]
	s_cbranch_execz .LBB5_683
; %bb.676:
	v_mov_b32_e32 v11, 0
	global_load_dwordx2 v[17:18], v11, s[36:37] offset:32 glc
	global_load_dwordx2 v[2:3], v11, s[36:37] offset:40
	v_mov_b32_e32 v15, s10
	v_mov_b32_e32 v16, s11
	s_waitcnt vmcnt(0)
	v_readfirstlane_b32 s18, v2
	v_readfirstlane_b32 s19, v3
	s_and_b64 s[18:19], s[18:19], s[10:11]
	s_mul_i32 s15, s19, 24
	s_mul_hi_u32 s19, s18, 24
	s_mul_i32 s18, s18, 24
	s_add_i32 s15, s19, s15
	v_mov_b32_e32 v2, s15
	v_add_co_u32_e32 v9, vcc, s18, v0
	v_addc_co_u32_e32 v10, vcc, v1, v2, vcc
	global_store_dwordx2 v[9:10], v[17:18], off
	s_waitcnt vmcnt(0)
	global_atomic_cmpswap_x2 v[2:3], v11, v[15:18], s[36:37] offset:32 glc
	s_waitcnt vmcnt(0)
	v_cmp_ne_u64_e32 vcc, v[2:3], v[17:18]
	s_and_saveexec_b64 s[18:19], vcc
	s_cbranch_execz .LBB5_679
; %bb.677:
	s_mov_b64 s[20:21], 0
.LBB5_678:                              ; =>This Inner Loop Header: Depth=1
	s_sleep 1
	global_store_dwordx2 v[9:10], v[2:3], off
	v_mov_b32_e32 v0, s10
	v_mov_b32_e32 v1, s11
	s_waitcnt vmcnt(0)
	global_atomic_cmpswap_x2 v[0:1], v11, v[0:3], s[36:37] offset:32 glc
	s_waitcnt vmcnt(0)
	v_cmp_eq_u64_e32 vcc, v[0:1], v[2:3]
	v_mov_b32_e32 v3, v1
	s_or_b64 s[20:21], vcc, s[20:21]
	v_mov_b32_e32 v2, v0
	s_andn2_b64 exec, exec, s[20:21]
	s_cbranch_execnz .LBB5_678
.LBB5_679:
	s_or_b64 exec, exec, s[18:19]
	v_mov_b32_e32 v3, 0
	global_load_dwordx2 v[0:1], v3, s[36:37] offset:16
	s_mov_b64 s[18:19], exec
	v_mbcnt_lo_u32_b32 v2, s18, 0
	v_mbcnt_hi_u32_b32 v2, s19, v2
	v_cmp_eq_u32_e32 vcc, 0, v2
	s_and_saveexec_b64 s[20:21], vcc
	s_cbranch_execz .LBB5_681
; %bb.680:
	s_bcnt1_i32_b64 s15, s[18:19]
	v_mov_b32_e32 v2, s15
	s_waitcnt vmcnt(0)
	global_atomic_add_x2 v[0:1], v[2:3], off offset:8
.LBB5_681:
	s_or_b64 exec, exec, s[20:21]
	s_waitcnt vmcnt(0)
	global_load_dwordx2 v[2:3], v[0:1], off offset:16
	s_waitcnt vmcnt(0)
	v_cmp_eq_u64_e32 vcc, 0, v[2:3]
	s_cbranch_vccnz .LBB5_683
; %bb.682:
	global_load_dword v0, v[0:1], off offset:24
	v_mov_b32_e32 v1, 0
	s_waitcnt vmcnt(0)
	global_store_dwordx2 v[2:3], v[0:1], off
	v_and_b32_e32 v0, 0xffffff, v0
	v_readfirstlane_b32 m0, v0
	s_sendmsg sendmsg(MSG_INTERRUPT)
.LBB5_683:
	s_or_b64 exec, exec, s[16:17]
	s_branch .LBB5_687
.LBB5_684:                              ;   in Loop: Header=BB5_687 Depth=1
	s_or_b64 exec, exec, s[16:17]
	v_readfirstlane_b32 s15, v0
	s_cmp_eq_u32 s15, 0
	s_cbranch_scc1 .LBB5_686
; %bb.685:                              ;   in Loop: Header=BB5_687 Depth=1
	s_sleep 1
	s_cbranch_execnz .LBB5_687
	s_branch .LBB5_689
.LBB5_686:
	s_branch .LBB5_689
.LBB5_687:                              ; =>This Inner Loop Header: Depth=1
	v_mov_b32_e32 v0, 1
	s_and_saveexec_b64 s[16:17], s[4:5]
	s_cbranch_execz .LBB5_684
; %bb.688:                              ;   in Loop: Header=BB5_687 Depth=1
	global_load_dword v0, v[6:7], off offset:20 glc
	s_waitcnt vmcnt(0)
	buffer_wbinvl1_vol
	v_and_b32_e32 v0, 1, v0
	s_branch .LBB5_684
.LBB5_689:
	global_load_dwordx2 v[0:1], v[13:14], off
	s_and_saveexec_b64 s[16:17], s[4:5]
	s_cbranch_execz .LBB5_692
; %bb.690:
	v_mov_b32_e32 v6, 0
	global_load_dwordx2 v[2:3], v6, s[36:37] offset:40
	global_load_dwordx2 v[13:14], v6, s[36:37] offset:24 glc
	global_load_dwordx2 v[15:16], v6, s[36:37]
	v_mov_b32_e32 v7, s11
	s_mov_b64 s[4:5], 0
	s_waitcnt vmcnt(2)
	v_add_co_u32_e32 v11, vcc, 1, v2
	v_addc_co_u32_e32 v12, vcc, 0, v3, vcc
	v_add_co_u32_e32 v9, vcc, s10, v11
	v_addc_co_u32_e32 v10, vcc, v12, v7, vcc
	v_cmp_eq_u64_e32 vcc, 0, v[9:10]
	v_cndmask_b32_e32 v10, v10, v12, vcc
	v_cndmask_b32_e32 v9, v9, v11, vcc
	v_and_b32_e32 v3, v10, v3
	v_and_b32_e32 v2, v9, v2
	v_mul_lo_u32 v3, v3, 24
	v_mul_hi_u32 v7, v2, 24
	v_mul_lo_u32 v2, v2, 24
	s_waitcnt vmcnt(1)
	v_mov_b32_e32 v11, v13
	v_mov_b32_e32 v12, v14
	v_add_u32_e32 v3, v7, v3
	s_waitcnt vmcnt(0)
	v_add_co_u32_e32 v2, vcc, v15, v2
	v_addc_co_u32_e32 v3, vcc, v16, v3, vcc
	global_store_dwordx2 v[2:3], v[13:14], off
	s_waitcnt vmcnt(0)
	global_atomic_cmpswap_x2 v[11:12], v6, v[9:12], s[36:37] offset:24 glc
	s_waitcnt vmcnt(0)
	v_cmp_ne_u64_e32 vcc, v[11:12], v[13:14]
	s_and_b64 exec, exec, vcc
	s_cbranch_execz .LBB5_692
.LBB5_691:                              ; =>This Inner Loop Header: Depth=1
	s_sleep 1
	global_store_dwordx2 v[2:3], v[11:12], off
	s_waitcnt vmcnt(0)
	global_atomic_cmpswap_x2 v[13:14], v6, v[9:12], s[36:37] offset:24 glc
	s_waitcnt vmcnt(0)
	v_cmp_eq_u64_e32 vcc, v[13:14], v[11:12]
	v_mov_b32_e32 v11, v13
	s_or_b64 s[4:5], vcc, s[4:5]
	v_mov_b32_e32 v12, v14
	s_andn2_b64 exec, exec, s[4:5]
	s_cbranch_execnz .LBB5_691
.LBB5_692:
	s_or_b64 exec, exec, s[16:17]
	s_and_b64 vcc, exec, s[38:39]
	s_cbranch_vccz .LBB5_777
; %bb.693:
	s_waitcnt vmcnt(0)
	v_and_b32_e32 v35, 2, v0
	v_mov_b32_e32 v3, 0
	v_and_b32_e32 v9, -3, v0
	v_mov_b32_e32 v10, v1
	s_mov_b64 s[16:17], 3
	v_mov_b32_e32 v13, 2
	v_mov_b32_e32 v14, 1
	s_getpc_b64 s[10:11]
	s_add_u32 s10, s10, .str.6@rel32@lo+4
	s_addc_u32 s11, s11, .str.6@rel32@hi+12
	s_branch .LBB5_695
.LBB5_694:                              ;   in Loop: Header=BB5_695 Depth=1
	s_or_b64 exec, exec, s[22:23]
	s_sub_u32 s16, s16, s18
	s_subb_u32 s17, s17, s19
	s_add_u32 s10, s10, s18
	s_addc_u32 s11, s11, s19
	s_cmp_lg_u64 s[16:17], 0
	s_cbranch_scc0 .LBB5_776
.LBB5_695:                              ; =>This Loop Header: Depth=1
                                        ;     Child Loop BB5_698 Depth 2
                                        ;     Child Loop BB5_705 Depth 2
	;; [unrolled: 1-line block ×11, first 2 shown]
	v_cmp_lt_u64_e64 s[4:5], s[16:17], 56
	v_cmp_gt_u64_e64 s[20:21], s[16:17], 7
	s_and_b64 s[4:5], s[4:5], exec
	s_cselect_b32 s19, s17, 0
	s_cselect_b32 s18, s16, 56
	s_and_b64 vcc, exec, s[20:21]
	s_cbranch_vccnz .LBB5_700
; %bb.696:                              ;   in Loop: Header=BB5_695 Depth=1
	v_mov_b32_e32 v17, 0
	s_cmp_eq_u64 s[16:17], 0
	v_mov_b32_e32 v18, 0
	s_mov_b64 s[4:5], 0
	s_cbranch_scc1 .LBB5_699
; %bb.697:                              ;   in Loop: Header=BB5_695 Depth=1
	v_mov_b32_e32 v17, 0
	s_lshl_b64 s[20:21], s[18:19], 3
	s_mov_b64 s[22:23], 0
	v_mov_b32_e32 v18, 0
	s_mov_b64 s[24:25], s[10:11]
.LBB5_698:                              ;   Parent Loop BB5_695 Depth=1
                                        ; =>  This Inner Loop Header: Depth=2
	global_load_ubyte v2, v3, s[24:25]
	s_waitcnt vmcnt(0)
	v_and_b32_e32 v2, 0xffff, v2
	v_lshlrev_b64 v[6:7], s22, v[2:3]
	s_add_u32 s22, s22, 8
	s_addc_u32 s23, s23, 0
	s_add_u32 s24, s24, 1
	s_addc_u32 s25, s25, 0
	v_or_b32_e32 v17, v6, v17
	s_cmp_lg_u32 s20, s22
	v_or_b32_e32 v18, v7, v18
	s_cbranch_scc1 .LBB5_698
.LBB5_699:                              ;   in Loop: Header=BB5_695 Depth=1
	s_mov_b32 s15, 0
	s_andn2_b64 vcc, exec, s[4:5]
	s_mov_b64 s[4:5], s[10:11]
	s_cbranch_vccz .LBB5_701
	s_branch .LBB5_702
.LBB5_700:                              ;   in Loop: Header=BB5_695 Depth=1
                                        ; implicit-def: $vgpr17_vgpr18
                                        ; implicit-def: $sgpr15
	s_mov_b64 s[4:5], s[10:11]
.LBB5_701:                              ;   in Loop: Header=BB5_695 Depth=1
	global_load_dwordx2 v[17:18], v3, s[10:11]
	s_add_i32 s15, s18, -8
	s_add_u32 s4, s10, 8
	s_addc_u32 s5, s11, 0
.LBB5_702:                              ;   in Loop: Header=BB5_695 Depth=1
	s_cmp_gt_u32 s15, 7
	s_cbranch_scc1 .LBB5_706
; %bb.703:                              ;   in Loop: Header=BB5_695 Depth=1
	s_cmp_eq_u32 s15, 0
	s_cbranch_scc1 .LBB5_707
; %bb.704:                              ;   in Loop: Header=BB5_695 Depth=1
	v_mov_b32_e32 v19, 0
	s_mov_b64 s[20:21], 0
	v_mov_b32_e32 v20, 0
	s_mov_b64 s[22:23], 0
.LBB5_705:                              ;   Parent Loop BB5_695 Depth=1
                                        ; =>  This Inner Loop Header: Depth=2
	s_add_u32 s24, s4, s22
	s_addc_u32 s25, s5, s23
	global_load_ubyte v2, v3, s[24:25]
	s_add_u32 s22, s22, 1
	s_addc_u32 s23, s23, 0
	s_waitcnt vmcnt(0)
	v_and_b32_e32 v2, 0xffff, v2
	v_lshlrev_b64 v[6:7], s20, v[2:3]
	s_add_u32 s20, s20, 8
	s_addc_u32 s21, s21, 0
	v_or_b32_e32 v19, v6, v19
	s_cmp_lg_u32 s15, s22
	v_or_b32_e32 v20, v7, v20
	s_cbranch_scc1 .LBB5_705
	s_branch .LBB5_708
.LBB5_706:                              ;   in Loop: Header=BB5_695 Depth=1
                                        ; implicit-def: $vgpr19_vgpr20
                                        ; implicit-def: $sgpr24
	s_branch .LBB5_709
.LBB5_707:                              ;   in Loop: Header=BB5_695 Depth=1
	v_mov_b32_e32 v19, 0
	v_mov_b32_e32 v20, 0
.LBB5_708:                              ;   in Loop: Header=BB5_695 Depth=1
	s_mov_b32 s24, 0
	s_cbranch_execnz .LBB5_710
.LBB5_709:                              ;   in Loop: Header=BB5_695 Depth=1
	global_load_dwordx2 v[19:20], v3, s[4:5]
	s_add_i32 s24, s15, -8
	s_add_u32 s4, s4, 8
	s_addc_u32 s5, s5, 0
.LBB5_710:                              ;   in Loop: Header=BB5_695 Depth=1
	s_cmp_gt_u32 s24, 7
	s_cbranch_scc1 .LBB5_714
; %bb.711:                              ;   in Loop: Header=BB5_695 Depth=1
	s_cmp_eq_u32 s24, 0
	s_cbranch_scc1 .LBB5_715
; %bb.712:                              ;   in Loop: Header=BB5_695 Depth=1
	v_mov_b32_e32 v21, 0
	s_mov_b64 s[20:21], 0
	v_mov_b32_e32 v22, 0
	s_mov_b64 s[22:23], 0
.LBB5_713:                              ;   Parent Loop BB5_695 Depth=1
                                        ; =>  This Inner Loop Header: Depth=2
	s_add_u32 s26, s4, s22
	s_addc_u32 s27, s5, s23
	global_load_ubyte v2, v3, s[26:27]
	s_add_u32 s22, s22, 1
	s_addc_u32 s23, s23, 0
	s_waitcnt vmcnt(0)
	v_and_b32_e32 v2, 0xffff, v2
	v_lshlrev_b64 v[6:7], s20, v[2:3]
	s_add_u32 s20, s20, 8
	s_addc_u32 s21, s21, 0
	v_or_b32_e32 v21, v6, v21
	s_cmp_lg_u32 s24, s22
	v_or_b32_e32 v22, v7, v22
	s_cbranch_scc1 .LBB5_713
	s_branch .LBB5_716
.LBB5_714:                              ;   in Loop: Header=BB5_695 Depth=1
                                        ; implicit-def: $sgpr15
	s_branch .LBB5_717
.LBB5_715:                              ;   in Loop: Header=BB5_695 Depth=1
	v_mov_b32_e32 v21, 0
	v_mov_b32_e32 v22, 0
.LBB5_716:                              ;   in Loop: Header=BB5_695 Depth=1
	s_mov_b32 s15, 0
	s_cbranch_execnz .LBB5_718
.LBB5_717:                              ;   in Loop: Header=BB5_695 Depth=1
	global_load_dwordx2 v[21:22], v3, s[4:5]
	s_add_i32 s15, s24, -8
	s_add_u32 s4, s4, 8
	s_addc_u32 s5, s5, 0
.LBB5_718:                              ;   in Loop: Header=BB5_695 Depth=1
	s_cmp_gt_u32 s15, 7
	s_cbranch_scc1 .LBB5_722
; %bb.719:                              ;   in Loop: Header=BB5_695 Depth=1
	s_cmp_eq_u32 s15, 0
	s_cbranch_scc1 .LBB5_723
; %bb.720:                              ;   in Loop: Header=BB5_695 Depth=1
	v_mov_b32_e32 v23, 0
	s_mov_b64 s[20:21], 0
	v_mov_b32_e32 v24, 0
	s_mov_b64 s[22:23], 0
.LBB5_721:                              ;   Parent Loop BB5_695 Depth=1
                                        ; =>  This Inner Loop Header: Depth=2
	s_add_u32 s24, s4, s22
	s_addc_u32 s25, s5, s23
	global_load_ubyte v2, v3, s[24:25]
	s_add_u32 s22, s22, 1
	s_addc_u32 s23, s23, 0
	s_waitcnt vmcnt(0)
	v_and_b32_e32 v2, 0xffff, v2
	v_lshlrev_b64 v[6:7], s20, v[2:3]
	s_add_u32 s20, s20, 8
	s_addc_u32 s21, s21, 0
	v_or_b32_e32 v23, v6, v23
	s_cmp_lg_u32 s15, s22
	v_or_b32_e32 v24, v7, v24
	s_cbranch_scc1 .LBB5_721
	s_branch .LBB5_724
.LBB5_722:                              ;   in Loop: Header=BB5_695 Depth=1
                                        ; implicit-def: $vgpr23_vgpr24
                                        ; implicit-def: $sgpr24
	s_branch .LBB5_725
.LBB5_723:                              ;   in Loop: Header=BB5_695 Depth=1
	v_mov_b32_e32 v23, 0
	v_mov_b32_e32 v24, 0
.LBB5_724:                              ;   in Loop: Header=BB5_695 Depth=1
	s_mov_b32 s24, 0
	s_cbranch_execnz .LBB5_726
.LBB5_725:                              ;   in Loop: Header=BB5_695 Depth=1
	global_load_dwordx2 v[23:24], v3, s[4:5]
	s_add_i32 s24, s15, -8
	s_add_u32 s4, s4, 8
	s_addc_u32 s5, s5, 0
.LBB5_726:                              ;   in Loop: Header=BB5_695 Depth=1
	s_cmp_gt_u32 s24, 7
	s_cbranch_scc1 .LBB5_730
; %bb.727:                              ;   in Loop: Header=BB5_695 Depth=1
	s_cmp_eq_u32 s24, 0
	s_cbranch_scc1 .LBB5_731
; %bb.728:                              ;   in Loop: Header=BB5_695 Depth=1
	v_mov_b32_e32 v25, 0
	s_mov_b64 s[20:21], 0
	v_mov_b32_e32 v26, 0
	s_mov_b64 s[22:23], 0
.LBB5_729:                              ;   Parent Loop BB5_695 Depth=1
                                        ; =>  This Inner Loop Header: Depth=2
	s_add_u32 s26, s4, s22
	s_addc_u32 s27, s5, s23
	global_load_ubyte v2, v3, s[26:27]
	s_add_u32 s22, s22, 1
	s_addc_u32 s23, s23, 0
	s_waitcnt vmcnt(0)
	v_and_b32_e32 v2, 0xffff, v2
	v_lshlrev_b64 v[6:7], s20, v[2:3]
	s_add_u32 s20, s20, 8
	s_addc_u32 s21, s21, 0
	v_or_b32_e32 v25, v6, v25
	s_cmp_lg_u32 s24, s22
	v_or_b32_e32 v26, v7, v26
	s_cbranch_scc1 .LBB5_729
	s_branch .LBB5_732
.LBB5_730:                              ;   in Loop: Header=BB5_695 Depth=1
                                        ; implicit-def: $sgpr15
	s_branch .LBB5_733
.LBB5_731:                              ;   in Loop: Header=BB5_695 Depth=1
	v_mov_b32_e32 v25, 0
	v_mov_b32_e32 v26, 0
.LBB5_732:                              ;   in Loop: Header=BB5_695 Depth=1
	s_mov_b32 s15, 0
	s_cbranch_execnz .LBB5_734
.LBB5_733:                              ;   in Loop: Header=BB5_695 Depth=1
	global_load_dwordx2 v[25:26], v3, s[4:5]
	s_add_i32 s15, s24, -8
	s_add_u32 s4, s4, 8
	s_addc_u32 s5, s5, 0
.LBB5_734:                              ;   in Loop: Header=BB5_695 Depth=1
	s_cmp_gt_u32 s15, 7
	s_cbranch_scc1 .LBB5_738
; %bb.735:                              ;   in Loop: Header=BB5_695 Depth=1
	s_cmp_eq_u32 s15, 0
	s_cbranch_scc1 .LBB5_739
; %bb.736:                              ;   in Loop: Header=BB5_695 Depth=1
	v_mov_b32_e32 v27, 0
	s_mov_b64 s[20:21], 0
	v_mov_b32_e32 v28, 0
	s_mov_b64 s[22:23], 0
.LBB5_737:                              ;   Parent Loop BB5_695 Depth=1
                                        ; =>  This Inner Loop Header: Depth=2
	s_add_u32 s24, s4, s22
	s_addc_u32 s25, s5, s23
	global_load_ubyte v2, v3, s[24:25]
	s_add_u32 s22, s22, 1
	s_addc_u32 s23, s23, 0
	s_waitcnt vmcnt(0)
	v_and_b32_e32 v2, 0xffff, v2
	v_lshlrev_b64 v[6:7], s20, v[2:3]
	s_add_u32 s20, s20, 8
	s_addc_u32 s21, s21, 0
	v_or_b32_e32 v27, v6, v27
	s_cmp_lg_u32 s15, s22
	v_or_b32_e32 v28, v7, v28
	s_cbranch_scc1 .LBB5_737
	s_branch .LBB5_740
.LBB5_738:                              ;   in Loop: Header=BB5_695 Depth=1
                                        ; implicit-def: $vgpr27_vgpr28
                                        ; implicit-def: $sgpr24
	s_branch .LBB5_741
.LBB5_739:                              ;   in Loop: Header=BB5_695 Depth=1
	v_mov_b32_e32 v27, 0
	v_mov_b32_e32 v28, 0
.LBB5_740:                              ;   in Loop: Header=BB5_695 Depth=1
	s_mov_b32 s24, 0
	s_cbranch_execnz .LBB5_742
.LBB5_741:                              ;   in Loop: Header=BB5_695 Depth=1
	global_load_dwordx2 v[27:28], v3, s[4:5]
	s_add_i32 s24, s15, -8
	s_add_u32 s4, s4, 8
	s_addc_u32 s5, s5, 0
.LBB5_742:                              ;   in Loop: Header=BB5_695 Depth=1
	s_cmp_gt_u32 s24, 7
	s_cbranch_scc1 .LBB5_746
; %bb.743:                              ;   in Loop: Header=BB5_695 Depth=1
	s_cmp_eq_u32 s24, 0
	s_cbranch_scc1 .LBB5_747
; %bb.744:                              ;   in Loop: Header=BB5_695 Depth=1
	v_mov_b32_e32 v29, 0
	s_mov_b64 s[20:21], 0
	v_mov_b32_e32 v30, 0
	s_mov_b64 s[22:23], s[4:5]
.LBB5_745:                              ;   Parent Loop BB5_695 Depth=1
                                        ; =>  This Inner Loop Header: Depth=2
	global_load_ubyte v2, v3, s[22:23]
	s_add_i32 s24, s24, -1
	s_waitcnt vmcnt(0)
	v_and_b32_e32 v2, 0xffff, v2
	v_lshlrev_b64 v[6:7], s20, v[2:3]
	s_add_u32 s20, s20, 8
	s_addc_u32 s21, s21, 0
	s_add_u32 s22, s22, 1
	s_addc_u32 s23, s23, 0
	v_or_b32_e32 v29, v6, v29
	s_cmp_lg_u32 s24, 0
	v_or_b32_e32 v30, v7, v30
	s_cbranch_scc1 .LBB5_745
	s_branch .LBB5_748
.LBB5_746:                              ;   in Loop: Header=BB5_695 Depth=1
	s_branch .LBB5_749
.LBB5_747:                              ;   in Loop: Header=BB5_695 Depth=1
	v_mov_b32_e32 v29, 0
	v_mov_b32_e32 v30, 0
.LBB5_748:                              ;   in Loop: Header=BB5_695 Depth=1
	s_cbranch_execnz .LBB5_750
.LBB5_749:                              ;   in Loop: Header=BB5_695 Depth=1
	global_load_dwordx2 v[29:30], v3, s[4:5]
.LBB5_750:                              ;   in Loop: Header=BB5_695 Depth=1
	v_readfirstlane_b32 s4, v51
	v_mov_b32_e32 v6, 0
	v_mov_b32_e32 v7, 0
	v_cmp_eq_u32_e64 s[4:5], s4, v51
	s_and_saveexec_b64 s[20:21], s[4:5]
	s_cbranch_execz .LBB5_756
; %bb.751:                              ;   in Loop: Header=BB5_695 Depth=1
	global_load_dwordx2 v[33:34], v3, s[36:37] offset:24 glc
	s_waitcnt vmcnt(0)
	buffer_wbinvl1_vol
	global_load_dwordx2 v[6:7], v3, s[36:37] offset:40
	global_load_dwordx2 v[11:12], v3, s[36:37]
	s_waitcnt vmcnt(1)
	v_and_b32_e32 v2, v6, v33
	v_and_b32_e32 v6, v7, v34
	v_mul_lo_u32 v6, v6, 24
	v_mul_hi_u32 v7, v2, 24
	v_mul_lo_u32 v2, v2, 24
	v_add_u32_e32 v7, v7, v6
	s_waitcnt vmcnt(0)
	v_add_co_u32_e32 v6, vcc, v11, v2
	v_addc_co_u32_e32 v7, vcc, v12, v7, vcc
	global_load_dwordx2 v[31:32], v[6:7], off glc
	s_waitcnt vmcnt(0)
	global_atomic_cmpswap_x2 v[6:7], v3, v[31:34], s[36:37] offset:24 glc
	s_waitcnt vmcnt(0)
	buffer_wbinvl1_vol
	v_cmp_ne_u64_e32 vcc, v[6:7], v[33:34]
	s_and_saveexec_b64 s[22:23], vcc
	s_cbranch_execz .LBB5_755
; %bb.752:                              ;   in Loop: Header=BB5_695 Depth=1
	s_mov_b64 s[24:25], 0
.LBB5_753:                              ;   Parent Loop BB5_695 Depth=1
                                        ; =>  This Inner Loop Header: Depth=2
	s_sleep 1
	global_load_dwordx2 v[11:12], v3, s[36:37] offset:40
	global_load_dwordx2 v[15:16], v3, s[36:37]
	v_mov_b32_e32 v34, v7
	v_mov_b32_e32 v33, v6
	s_waitcnt vmcnt(1)
	v_and_b32_e32 v2, v11, v33
	s_waitcnt vmcnt(0)
	v_mad_u64_u32 v[6:7], s[26:27], v2, 24, v[15:16]
	v_and_b32_e32 v11, v12, v34
	v_mov_b32_e32 v2, v7
	v_mad_u64_u32 v[11:12], s[26:27], v11, 24, v[2:3]
	v_mov_b32_e32 v7, v11
	global_load_dwordx2 v[31:32], v[6:7], off glc
	s_waitcnt vmcnt(0)
	global_atomic_cmpswap_x2 v[6:7], v3, v[31:34], s[36:37] offset:24 glc
	s_waitcnt vmcnt(0)
	buffer_wbinvl1_vol
	v_cmp_eq_u64_e32 vcc, v[6:7], v[33:34]
	s_or_b64 s[24:25], vcc, s[24:25]
	s_andn2_b64 exec, exec, s[24:25]
	s_cbranch_execnz .LBB5_753
; %bb.754:                              ;   in Loop: Header=BB5_695 Depth=1
	s_or_b64 exec, exec, s[24:25]
.LBB5_755:                              ;   in Loop: Header=BB5_695 Depth=1
	s_or_b64 exec, exec, s[22:23]
.LBB5_756:                              ;   in Loop: Header=BB5_695 Depth=1
	s_or_b64 exec, exec, s[20:21]
	global_load_dwordx2 v[11:12], v3, s[36:37] offset:40
	global_load_dwordx4 v[31:34], v3, s[36:37]
	v_readfirstlane_b32 s20, v6
	v_readfirstlane_b32 s21, v7
	s_mov_b64 s[22:23], exec
	s_waitcnt vmcnt(1)
	v_readfirstlane_b32 s24, v11
	v_readfirstlane_b32 s25, v12
	s_and_b64 s[24:25], s[20:21], s[24:25]
	s_mul_i32 s15, s25, 24
	s_mul_hi_u32 s26, s24, 24
	s_mul_i32 s27, s24, 24
	s_add_i32 s15, s26, s15
	v_mov_b32_e32 v2, s15
	s_waitcnt vmcnt(0)
	v_add_co_u32_e32 v6, vcc, s27, v31
	v_addc_co_u32_e32 v7, vcc, v32, v2, vcc
	s_and_saveexec_b64 s[26:27], s[4:5]
	s_cbranch_execz .LBB5_758
; %bb.757:                              ;   in Loop: Header=BB5_695 Depth=1
	v_mov_b32_e32 v11, s22
	v_mov_b32_e32 v12, s23
	global_store_dwordx4 v[6:7], v[11:14], off offset:8
.LBB5_758:                              ;   in Loop: Header=BB5_695 Depth=1
	s_or_b64 exec, exec, s[26:27]
	s_lshl_b64 s[22:23], s[24:25], 12
	v_mov_b32_e32 v2, s23
	v_add_co_u32_e32 v33, vcc, s22, v33
	v_addc_co_u32_e32 v34, vcc, v34, v2, vcc
	v_cmp_gt_u64_e64 vcc, s[16:17], 56
	v_or_b32_e32 v2, 0, v10
	v_or_b32_e32 v11, v9, v35
	s_lshl_b32 s15, s18, 2
	v_cndmask_b32_e32 v16, v2, v10, vcc
	v_cndmask_b32_e32 v2, v11, v9, vcc
	s_add_i32 s15, s15, 28
	s_and_b32 s15, s15, 0x1e0
	v_and_b32_e32 v2, 0xffffff1f, v2
	v_or_b32_e32 v15, s15, v2
	v_readfirstlane_b32 s22, v33
	v_readfirstlane_b32 s23, v34
	s_nop 4
	global_store_dwordx4 v50, v[15:18], s[22:23]
	global_store_dwordx4 v50, v[19:22], s[22:23] offset:16
	global_store_dwordx4 v50, v[23:26], s[22:23] offset:32
	;; [unrolled: 1-line block ×3, first 2 shown]
	s_and_saveexec_b64 s[22:23], s[4:5]
	s_cbranch_execz .LBB5_766
; %bb.759:                              ;   in Loop: Header=BB5_695 Depth=1
	global_load_dwordx2 v[19:20], v3, s[36:37] offset:32 glc
	global_load_dwordx2 v[9:10], v3, s[36:37] offset:40
	v_mov_b32_e32 v17, s20
	v_mov_b32_e32 v18, s21
	s_waitcnt vmcnt(0)
	v_readfirstlane_b32 s24, v9
	v_readfirstlane_b32 s25, v10
	s_and_b64 s[24:25], s[24:25], s[20:21]
	s_mul_i32 s15, s25, 24
	s_mul_hi_u32 s25, s24, 24
	s_mul_i32 s24, s24, 24
	s_add_i32 s15, s25, s15
	v_mov_b32_e32 v2, s15
	v_add_co_u32_e32 v15, vcc, s24, v31
	v_addc_co_u32_e32 v16, vcc, v32, v2, vcc
	global_store_dwordx2 v[15:16], v[19:20], off
	s_waitcnt vmcnt(0)
	global_atomic_cmpswap_x2 v[11:12], v3, v[17:20], s[36:37] offset:32 glc
	s_waitcnt vmcnt(0)
	v_cmp_ne_u64_e32 vcc, v[11:12], v[19:20]
	s_and_saveexec_b64 s[24:25], vcc
	s_cbranch_execz .LBB5_762
; %bb.760:                              ;   in Loop: Header=BB5_695 Depth=1
	s_mov_b64 s[26:27], 0
.LBB5_761:                              ;   Parent Loop BB5_695 Depth=1
                                        ; =>  This Inner Loop Header: Depth=2
	s_sleep 1
	global_store_dwordx2 v[15:16], v[11:12], off
	v_mov_b32_e32 v9, s20
	v_mov_b32_e32 v10, s21
	s_waitcnt vmcnt(0)
	global_atomic_cmpswap_x2 v[9:10], v3, v[9:12], s[36:37] offset:32 glc
	s_waitcnt vmcnt(0)
	v_cmp_eq_u64_e32 vcc, v[9:10], v[11:12]
	v_mov_b32_e32 v12, v10
	s_or_b64 s[26:27], vcc, s[26:27]
	v_mov_b32_e32 v11, v9
	s_andn2_b64 exec, exec, s[26:27]
	s_cbranch_execnz .LBB5_761
.LBB5_762:                              ;   in Loop: Header=BB5_695 Depth=1
	s_or_b64 exec, exec, s[24:25]
	global_load_dwordx2 v[9:10], v3, s[36:37] offset:16
	s_mov_b64 s[26:27], exec
	v_mbcnt_lo_u32_b32 v2, s26, 0
	v_mbcnt_hi_u32_b32 v2, s27, v2
	v_cmp_eq_u32_e32 vcc, 0, v2
	s_and_saveexec_b64 s[24:25], vcc
	s_cbranch_execz .LBB5_764
; %bb.763:                              ;   in Loop: Header=BB5_695 Depth=1
	s_bcnt1_i32_b64 s15, s[26:27]
	v_mov_b32_e32 v2, s15
	s_waitcnt vmcnt(0)
	global_atomic_add_x2 v[9:10], v[2:3], off offset:8
.LBB5_764:                              ;   in Loop: Header=BB5_695 Depth=1
	s_or_b64 exec, exec, s[24:25]
	s_waitcnt vmcnt(0)
	global_load_dwordx2 v[11:12], v[9:10], off offset:16
	s_waitcnt vmcnt(0)
	v_cmp_eq_u64_e32 vcc, 0, v[11:12]
	s_cbranch_vccnz .LBB5_766
; %bb.765:                              ;   in Loop: Header=BB5_695 Depth=1
	global_load_dword v2, v[9:10], off offset:24
	s_waitcnt vmcnt(0)
	global_store_dwordx2 v[11:12], v[2:3], off
	v_and_b32_e32 v2, 0xffffff, v2
	v_readfirstlane_b32 m0, v2
	s_sendmsg sendmsg(MSG_INTERRUPT)
.LBB5_766:                              ;   in Loop: Header=BB5_695 Depth=1
	s_or_b64 exec, exec, s[22:23]
	v_add_co_u32_e32 v9, vcc, v33, v50
	v_addc_co_u32_e32 v10, vcc, 0, v34, vcc
	s_branch .LBB5_770
.LBB5_767:                              ;   in Loop: Header=BB5_770 Depth=2
	s_or_b64 exec, exec, s[22:23]
	v_readfirstlane_b32 s15, v2
	s_cmp_eq_u32 s15, 0
	s_cbranch_scc1 .LBB5_769
; %bb.768:                              ;   in Loop: Header=BB5_770 Depth=2
	s_sleep 1
	s_cbranch_execnz .LBB5_770
	s_branch .LBB5_772
.LBB5_769:                              ;   in Loop: Header=BB5_695 Depth=1
	s_branch .LBB5_772
.LBB5_770:                              ;   Parent Loop BB5_695 Depth=1
                                        ; =>  This Inner Loop Header: Depth=2
	v_mov_b32_e32 v2, 1
	s_and_saveexec_b64 s[22:23], s[4:5]
	s_cbranch_execz .LBB5_767
; %bb.771:                              ;   in Loop: Header=BB5_770 Depth=2
	global_load_dword v2, v[6:7], off offset:20 glc
	s_waitcnt vmcnt(0)
	buffer_wbinvl1_vol
	v_and_b32_e32 v2, 1, v2
	s_branch .LBB5_767
.LBB5_772:                              ;   in Loop: Header=BB5_695 Depth=1
	global_load_dwordx4 v[9:12], v[9:10], off
	s_and_saveexec_b64 s[22:23], s[4:5]
	s_cbranch_execz .LBB5_694
; %bb.773:                              ;   in Loop: Header=BB5_695 Depth=1
	global_load_dwordx2 v[6:7], v3, s[36:37] offset:40
	global_load_dwordx2 v[11:12], v3, s[36:37] offset:24 glc
	global_load_dwordx2 v[18:19], v3, s[36:37]
	v_mov_b32_e32 v2, s21
	s_waitcnt vmcnt(2)
	v_add_co_u32_e32 v17, vcc, 1, v6
	v_addc_co_u32_e32 v20, vcc, 0, v7, vcc
	v_add_co_u32_e32 v15, vcc, s20, v17
	v_addc_co_u32_e32 v16, vcc, v20, v2, vcc
	v_cmp_eq_u64_e32 vcc, 0, v[15:16]
	v_cndmask_b32_e32 v16, v16, v20, vcc
	v_cndmask_b32_e32 v15, v15, v17, vcc
	v_and_b32_e32 v2, v16, v7
	v_and_b32_e32 v6, v15, v6
	v_mul_lo_u32 v2, v2, 24
	v_mul_hi_u32 v7, v6, 24
	v_mul_lo_u32 v6, v6, 24
	s_waitcnt vmcnt(1)
	v_mov_b32_e32 v17, v11
	v_add_u32_e32 v2, v7, v2
	s_waitcnt vmcnt(0)
	v_add_co_u32_e32 v6, vcc, v18, v6
	v_addc_co_u32_e32 v7, vcc, v19, v2, vcc
	global_store_dwordx2 v[6:7], v[11:12], off
	v_mov_b32_e32 v18, v12
	s_waitcnt vmcnt(0)
	global_atomic_cmpswap_x2 v[17:18], v3, v[15:18], s[36:37] offset:24 glc
	s_waitcnt vmcnt(0)
	v_cmp_ne_u64_e32 vcc, v[17:18], v[11:12]
	s_and_b64 exec, exec, vcc
	s_cbranch_execz .LBB5_694
; %bb.774:                              ;   in Loop: Header=BB5_695 Depth=1
	s_mov_b64 s[4:5], 0
.LBB5_775:                              ;   Parent Loop BB5_695 Depth=1
                                        ; =>  This Inner Loop Header: Depth=2
	s_sleep 1
	global_store_dwordx2 v[6:7], v[17:18], off
	s_waitcnt vmcnt(0)
	global_atomic_cmpswap_x2 v[11:12], v3, v[15:18], s[36:37] offset:24 glc
	s_waitcnt vmcnt(0)
	v_cmp_eq_u64_e32 vcc, v[11:12], v[17:18]
	v_mov_b32_e32 v18, v12
	s_or_b64 s[4:5], vcc, s[4:5]
	v_mov_b32_e32 v17, v11
	s_andn2_b64 exec, exec, s[4:5]
	s_cbranch_execnz .LBB5_775
	s_branch .LBB5_694
.LBB5_776:
	s_branch .LBB5_804
.LBB5_777:
                                        ; implicit-def: $vgpr9_vgpr10
	s_cbranch_execz .LBB5_804
; %bb.778:
	v_readfirstlane_b32 s4, v51
	v_mov_b32_e32 v6, 0
	v_mov_b32_e32 v7, 0
	v_cmp_eq_u32_e64 s[4:5], s4, v51
	s_and_saveexec_b64 s[10:11], s[4:5]
	s_cbranch_execz .LBB5_784
; %bb.779:
	v_mov_b32_e32 v2, 0
	global_load_dwordx2 v[11:12], v2, s[36:37] offset:24 glc
	s_waitcnt vmcnt(0)
	buffer_wbinvl1_vol
	global_load_dwordx2 v[6:7], v2, s[36:37] offset:40
	global_load_dwordx2 v[9:10], v2, s[36:37]
	s_waitcnt vmcnt(1)
	v_and_b32_e32 v3, v6, v11
	v_and_b32_e32 v6, v7, v12
	v_mul_lo_u32 v6, v6, 24
	v_mul_hi_u32 v7, v3, 24
	v_mul_lo_u32 v3, v3, 24
	v_add_u32_e32 v7, v7, v6
	s_waitcnt vmcnt(0)
	v_add_co_u32_e32 v6, vcc, v9, v3
	v_addc_co_u32_e32 v7, vcc, v10, v7, vcc
	global_load_dwordx2 v[9:10], v[6:7], off glc
	s_waitcnt vmcnt(0)
	global_atomic_cmpswap_x2 v[6:7], v2, v[9:12], s[36:37] offset:24 glc
	s_waitcnt vmcnt(0)
	buffer_wbinvl1_vol
	v_cmp_ne_u64_e32 vcc, v[6:7], v[11:12]
	s_and_saveexec_b64 s[16:17], vcc
	s_cbranch_execz .LBB5_783
; %bb.780:
	s_mov_b64 s[18:19], 0
.LBB5_781:                              ; =>This Inner Loop Header: Depth=1
	s_sleep 1
	global_load_dwordx2 v[9:10], v2, s[36:37] offset:40
	global_load_dwordx2 v[13:14], v2, s[36:37]
	v_mov_b32_e32 v12, v7
	v_mov_b32_e32 v11, v6
	s_waitcnt vmcnt(1)
	v_and_b32_e32 v3, v9, v11
	s_waitcnt vmcnt(0)
	v_mad_u64_u32 v[6:7], s[20:21], v3, 24, v[13:14]
	v_and_b32_e32 v9, v10, v12
	v_mov_b32_e32 v3, v7
	v_mad_u64_u32 v[9:10], s[20:21], v9, 24, v[3:4]
	v_mov_b32_e32 v7, v9
	global_load_dwordx2 v[9:10], v[6:7], off glc
	s_waitcnt vmcnt(0)
	global_atomic_cmpswap_x2 v[6:7], v2, v[9:12], s[36:37] offset:24 glc
	s_waitcnt vmcnt(0)
	buffer_wbinvl1_vol
	v_cmp_eq_u64_e32 vcc, v[6:7], v[11:12]
	s_or_b64 s[18:19], vcc, s[18:19]
	s_andn2_b64 exec, exec, s[18:19]
	s_cbranch_execnz .LBB5_781
; %bb.782:
	s_or_b64 exec, exec, s[18:19]
.LBB5_783:
	s_or_b64 exec, exec, s[16:17]
.LBB5_784:
	s_or_b64 exec, exec, s[10:11]
	v_mov_b32_e32 v2, 0
	global_load_dwordx2 v[13:14], v2, s[36:37] offset:40
	global_load_dwordx4 v[9:12], v2, s[36:37]
	v_readfirstlane_b32 s10, v6
	v_readfirstlane_b32 s11, v7
	s_mov_b64 s[16:17], exec
	s_waitcnt vmcnt(1)
	v_readfirstlane_b32 s18, v13
	v_readfirstlane_b32 s19, v14
	s_and_b64 s[18:19], s[10:11], s[18:19]
	s_mul_i32 s15, s19, 24
	s_mul_hi_u32 s20, s18, 24
	s_mul_i32 s21, s18, 24
	s_add_i32 s15, s20, s15
	v_mov_b32_e32 v3, s15
	s_waitcnt vmcnt(0)
	v_add_co_u32_e32 v6, vcc, s21, v9
	v_addc_co_u32_e32 v7, vcc, v10, v3, vcc
	s_and_saveexec_b64 s[20:21], s[4:5]
	s_cbranch_execz .LBB5_786
; %bb.785:
	v_mov_b32_e32 v13, s16
	v_mov_b32_e32 v14, s17
	;; [unrolled: 1-line block ×4, first 2 shown]
	global_store_dwordx4 v[6:7], v[13:16], off offset:8
.LBB5_786:
	s_or_b64 exec, exec, s[20:21]
	s_lshl_b64 s[16:17], s[18:19], 12
	v_mov_b32_e32 v3, s17
	v_add_co_u32_e32 v13, vcc, s16, v11
	v_addc_co_u32_e32 v14, vcc, v12, v3, vcc
	s_movk_i32 s15, 0xff1f
	v_and_or_b32 v0, v0, s15, 32
	s_mov_b32 s16, 0
	v_mov_b32_e32 v3, v2
	v_readfirstlane_b32 s20, v13
	v_readfirstlane_b32 s21, v14
	v_add_co_u32_e32 v11, vcc, v13, v50
	s_mov_b32 s17, s16
	s_mov_b32 s18, s16
	;; [unrolled: 1-line block ×3, first 2 shown]
	s_nop 0
	global_store_dwordx4 v50, v[0:3], s[20:21]
	v_addc_co_u32_e32 v12, vcc, 0, v14, vcc
	v_mov_b32_e32 v0, s16
	v_mov_b32_e32 v1, s17
	;; [unrolled: 1-line block ×4, first 2 shown]
	global_store_dwordx4 v50, v[0:3], s[20:21] offset:16
	global_store_dwordx4 v50, v[0:3], s[20:21] offset:32
	;; [unrolled: 1-line block ×3, first 2 shown]
	s_and_saveexec_b64 s[16:17], s[4:5]
	s_cbranch_execz .LBB5_794
; %bb.787:
	v_mov_b32_e32 v13, 0
	global_load_dwordx2 v[16:17], v13, s[36:37] offset:32 glc
	global_load_dwordx2 v[0:1], v13, s[36:37] offset:40
	v_mov_b32_e32 v14, s10
	v_mov_b32_e32 v15, s11
	s_waitcnt vmcnt(0)
	v_readfirstlane_b32 s18, v0
	v_readfirstlane_b32 s19, v1
	s_and_b64 s[18:19], s[18:19], s[10:11]
	s_mul_i32 s15, s19, 24
	s_mul_hi_u32 s19, s18, 24
	s_mul_i32 s18, s18, 24
	s_add_i32 s15, s19, s15
	v_mov_b32_e32 v0, s15
	v_add_co_u32_e32 v9, vcc, s18, v9
	v_addc_co_u32_e32 v10, vcc, v10, v0, vcc
	global_store_dwordx2 v[9:10], v[16:17], off
	s_waitcnt vmcnt(0)
	global_atomic_cmpswap_x2 v[2:3], v13, v[14:17], s[36:37] offset:32 glc
	s_waitcnt vmcnt(0)
	v_cmp_ne_u64_e32 vcc, v[2:3], v[16:17]
	s_and_saveexec_b64 s[18:19], vcc
	s_cbranch_execz .LBB5_790
; %bb.788:
	s_mov_b64 s[20:21], 0
.LBB5_789:                              ; =>This Inner Loop Header: Depth=1
	s_sleep 1
	global_store_dwordx2 v[9:10], v[2:3], off
	v_mov_b32_e32 v0, s10
	v_mov_b32_e32 v1, s11
	s_waitcnt vmcnt(0)
	global_atomic_cmpswap_x2 v[0:1], v13, v[0:3], s[36:37] offset:32 glc
	s_waitcnt vmcnt(0)
	v_cmp_eq_u64_e32 vcc, v[0:1], v[2:3]
	v_mov_b32_e32 v3, v1
	s_or_b64 s[20:21], vcc, s[20:21]
	v_mov_b32_e32 v2, v0
	s_andn2_b64 exec, exec, s[20:21]
	s_cbranch_execnz .LBB5_789
.LBB5_790:
	s_or_b64 exec, exec, s[18:19]
	v_mov_b32_e32 v3, 0
	global_load_dwordx2 v[0:1], v3, s[36:37] offset:16
	s_mov_b64 s[18:19], exec
	v_mbcnt_lo_u32_b32 v2, s18, 0
	v_mbcnt_hi_u32_b32 v2, s19, v2
	v_cmp_eq_u32_e32 vcc, 0, v2
	s_and_saveexec_b64 s[20:21], vcc
	s_cbranch_execz .LBB5_792
; %bb.791:
	s_bcnt1_i32_b64 s15, s[18:19]
	v_mov_b32_e32 v2, s15
	s_waitcnt vmcnt(0)
	global_atomic_add_x2 v[0:1], v[2:3], off offset:8
.LBB5_792:
	s_or_b64 exec, exec, s[20:21]
	s_waitcnt vmcnt(0)
	global_load_dwordx2 v[2:3], v[0:1], off offset:16
	s_waitcnt vmcnt(0)
	v_cmp_eq_u64_e32 vcc, 0, v[2:3]
	s_cbranch_vccnz .LBB5_794
; %bb.793:
	global_load_dword v0, v[0:1], off offset:24
	v_mov_b32_e32 v1, 0
	s_waitcnt vmcnt(0)
	global_store_dwordx2 v[2:3], v[0:1], off
	v_and_b32_e32 v0, 0xffffff, v0
	v_readfirstlane_b32 m0, v0
	s_sendmsg sendmsg(MSG_INTERRUPT)
.LBB5_794:
	s_or_b64 exec, exec, s[16:17]
	s_branch .LBB5_798
.LBB5_795:                              ;   in Loop: Header=BB5_798 Depth=1
	s_or_b64 exec, exec, s[16:17]
	v_readfirstlane_b32 s15, v0
	s_cmp_eq_u32 s15, 0
	s_cbranch_scc1 .LBB5_797
; %bb.796:                              ;   in Loop: Header=BB5_798 Depth=1
	s_sleep 1
	s_cbranch_execnz .LBB5_798
	s_branch .LBB5_800
.LBB5_797:
	s_branch .LBB5_800
.LBB5_798:                              ; =>This Inner Loop Header: Depth=1
	v_mov_b32_e32 v0, 1
	s_and_saveexec_b64 s[16:17], s[4:5]
	s_cbranch_execz .LBB5_795
; %bb.799:                              ;   in Loop: Header=BB5_798 Depth=1
	global_load_dword v0, v[6:7], off offset:20 glc
	s_waitcnt vmcnt(0)
	buffer_wbinvl1_vol
	v_and_b32_e32 v0, 1, v0
	s_branch .LBB5_795
.LBB5_800:
	global_load_dwordx2 v[9:10], v[11:12], off
	s_and_saveexec_b64 s[16:17], s[4:5]
	s_cbranch_execz .LBB5_803
; %bb.801:
	v_mov_b32_e32 v11, 0
	global_load_dwordx2 v[2:3], v11, s[36:37] offset:40
	global_load_dwordx2 v[12:13], v11, s[36:37] offset:24 glc
	global_load_dwordx2 v[6:7], v11, s[36:37]
	v_mov_b32_e32 v1, s11
	s_mov_b64 s[4:5], 0
	s_waitcnt vmcnt(2)
	v_add_co_u32_e32 v14, vcc, 1, v2
	v_addc_co_u32_e32 v15, vcc, 0, v3, vcc
	v_add_co_u32_e32 v0, vcc, s10, v14
	v_addc_co_u32_e32 v1, vcc, v15, v1, vcc
	v_cmp_eq_u64_e32 vcc, 0, v[0:1]
	v_cndmask_b32_e32 v1, v1, v15, vcc
	v_cndmask_b32_e32 v0, v0, v14, vcc
	v_and_b32_e32 v3, v1, v3
	v_and_b32_e32 v2, v0, v2
	v_mul_lo_u32 v3, v3, 24
	v_mul_hi_u32 v14, v2, 24
	v_mul_lo_u32 v15, v2, 24
	s_waitcnt vmcnt(1)
	v_mov_b32_e32 v2, v12
	v_add_u32_e32 v3, v14, v3
	s_waitcnt vmcnt(0)
	v_add_co_u32_e32 v6, vcc, v6, v15
	v_addc_co_u32_e32 v7, vcc, v7, v3, vcc
	global_store_dwordx2 v[6:7], v[12:13], off
	v_mov_b32_e32 v3, v13
	s_waitcnt vmcnt(0)
	global_atomic_cmpswap_x2 v[2:3], v11, v[0:3], s[36:37] offset:24 glc
	s_waitcnt vmcnt(0)
	v_cmp_ne_u64_e32 vcc, v[2:3], v[12:13]
	s_and_b64 exec, exec, vcc
	s_cbranch_execz .LBB5_803
.LBB5_802:                              ; =>This Inner Loop Header: Depth=1
	s_sleep 1
	global_store_dwordx2 v[6:7], v[2:3], off
	s_waitcnt vmcnt(0)
	global_atomic_cmpswap_x2 v[12:13], v11, v[0:3], s[36:37] offset:24 glc
	s_waitcnt vmcnt(0)
	v_cmp_eq_u64_e32 vcc, v[12:13], v[2:3]
	v_mov_b32_e32 v2, v12
	s_or_b64 s[4:5], vcc, s[4:5]
	v_mov_b32_e32 v3, v13
	s_andn2_b64 exec, exec, s[4:5]
	s_cbranch_execnz .LBB5_802
.LBB5_803:
	s_or_b64 exec, exec, s[16:17]
.LBB5_804:
	v_readfirstlane_b32 s4, v51
	v_mov_b32_e32 v6, 0
	v_mov_b32_e32 v7, 0
	v_cmp_eq_u32_e64 s[4:5], s4, v51
	s_and_saveexec_b64 s[10:11], s[4:5]
	s_cbranch_execz .LBB5_810
; %bb.805:
	s_waitcnt vmcnt(0)
	v_mov_b32_e32 v0, 0
	global_load_dwordx2 v[13:14], v0, s[36:37] offset:24 glc
	s_waitcnt vmcnt(0)
	buffer_wbinvl1_vol
	global_load_dwordx2 v[1:2], v0, s[36:37] offset:40
	global_load_dwordx2 v[6:7], v0, s[36:37]
	s_waitcnt vmcnt(1)
	v_and_b32_e32 v1, v1, v13
	v_and_b32_e32 v2, v2, v14
	v_mul_lo_u32 v2, v2, 24
	v_mul_hi_u32 v3, v1, 24
	v_mul_lo_u32 v1, v1, 24
	v_add_u32_e32 v2, v3, v2
	s_waitcnt vmcnt(0)
	v_add_co_u32_e32 v1, vcc, v6, v1
	v_addc_co_u32_e32 v2, vcc, v7, v2, vcc
	global_load_dwordx2 v[11:12], v[1:2], off glc
	s_waitcnt vmcnt(0)
	global_atomic_cmpswap_x2 v[6:7], v0, v[11:14], s[36:37] offset:24 glc
	s_waitcnt vmcnt(0)
	buffer_wbinvl1_vol
	v_cmp_ne_u64_e32 vcc, v[6:7], v[13:14]
	s_and_saveexec_b64 s[16:17], vcc
	s_cbranch_execz .LBB5_809
; %bb.806:
	s_mov_b64 s[18:19], 0
.LBB5_807:                              ; =>This Inner Loop Header: Depth=1
	s_sleep 1
	global_load_dwordx2 v[1:2], v0, s[36:37] offset:40
	global_load_dwordx2 v[11:12], v0, s[36:37]
	v_mov_b32_e32 v14, v7
	v_mov_b32_e32 v13, v6
	s_waitcnt vmcnt(1)
	v_and_b32_e32 v1, v1, v13
	s_waitcnt vmcnt(0)
	v_mad_u64_u32 v[6:7], s[20:21], v1, 24, v[11:12]
	v_and_b32_e32 v2, v2, v14
	v_mov_b32_e32 v1, v7
	v_mad_u64_u32 v[1:2], s[20:21], v2, 24, v[1:2]
	v_mov_b32_e32 v7, v1
	global_load_dwordx2 v[11:12], v[6:7], off glc
	s_waitcnt vmcnt(0)
	global_atomic_cmpswap_x2 v[6:7], v0, v[11:14], s[36:37] offset:24 glc
	s_waitcnt vmcnt(0)
	buffer_wbinvl1_vol
	v_cmp_eq_u64_e32 vcc, v[6:7], v[13:14]
	s_or_b64 s[18:19], vcc, s[18:19]
	s_andn2_b64 exec, exec, s[18:19]
	s_cbranch_execnz .LBB5_807
; %bb.808:
	s_or_b64 exec, exec, s[18:19]
.LBB5_809:
	s_or_b64 exec, exec, s[16:17]
.LBB5_810:
	s_or_b64 exec, exec, s[10:11]
	s_waitcnt vmcnt(0)
	v_mov_b32_e32 v12, 0
	global_load_dwordx2 v[13:14], v12, s[36:37] offset:40
	global_load_dwordx4 v[0:3], v12, s[36:37]
	v_readfirstlane_b32 s10, v6
	v_readfirstlane_b32 s11, v7
	s_mov_b64 s[16:17], exec
	s_waitcnt vmcnt(1)
	v_readfirstlane_b32 s18, v13
	v_readfirstlane_b32 s19, v14
	s_and_b64 s[18:19], s[10:11], s[18:19]
	s_mul_i32 s15, s19, 24
	s_mul_hi_u32 s20, s18, 24
	s_mul_i32 s21, s18, 24
	s_add_i32 s15, s20, s15
	v_mov_b32_e32 v7, s15
	s_waitcnt vmcnt(0)
	v_add_co_u32_e32 v6, vcc, s21, v0
	v_addc_co_u32_e32 v7, vcc, v1, v7, vcc
	s_and_saveexec_b64 s[20:21], s[4:5]
	s_cbranch_execz .LBB5_812
; %bb.811:
	v_mov_b32_e32 v13, s16
	v_mov_b32_e32 v14, s17
	v_mov_b32_e32 v15, 2
	v_mov_b32_e32 v16, 1
	global_store_dwordx4 v[6:7], v[13:16], off offset:8
.LBB5_812:
	s_or_b64 exec, exec, s[20:21]
	s_lshl_b64 s[16:17], s[18:19], 12
	v_mov_b32_e32 v11, s17
	v_add_co_u32_e32 v2, vcc, s16, v2
	v_addc_co_u32_e32 v3, vcc, v3, v11, vcc
	s_movk_i32 s15, 0xff1d
	v_and_or_b32 v9, v9, s15, 34
	s_mov_b32 s16, 0
	v_mov_b32_e32 v11, 58
	v_readfirstlane_b32 s20, v2
	v_readfirstlane_b32 s21, v3
	s_mov_b32 s17, s16
	s_mov_b32 s18, s16
	;; [unrolled: 1-line block ×3, first 2 shown]
	s_nop 1
	global_store_dwordx4 v50, v[9:12], s[20:21]
	s_nop 0
	v_mov_b32_e32 v9, s16
	v_mov_b32_e32 v10, s17
	;; [unrolled: 1-line block ×4, first 2 shown]
	global_store_dwordx4 v50, v[9:12], s[20:21] offset:16
	global_store_dwordx4 v50, v[9:12], s[20:21] offset:32
	;; [unrolled: 1-line block ×3, first 2 shown]
	s_and_saveexec_b64 s[16:17], s[4:5]
	s_cbranch_execz .LBB5_820
; %bb.813:
	v_mov_b32_e32 v11, 0
	global_load_dwordx2 v[14:15], v11, s[36:37] offset:32 glc
	global_load_dwordx2 v[2:3], v11, s[36:37] offset:40
	v_mov_b32_e32 v12, s10
	v_mov_b32_e32 v13, s11
	s_waitcnt vmcnt(0)
	v_readfirstlane_b32 s18, v2
	v_readfirstlane_b32 s19, v3
	s_and_b64 s[18:19], s[18:19], s[10:11]
	s_mul_i32 s15, s19, 24
	s_mul_hi_u32 s19, s18, 24
	s_mul_i32 s18, s18, 24
	s_add_i32 s15, s19, s15
	v_mov_b32_e32 v2, s15
	v_add_co_u32_e32 v9, vcc, s18, v0
	v_addc_co_u32_e32 v10, vcc, v1, v2, vcc
	global_store_dwordx2 v[9:10], v[14:15], off
	s_waitcnt vmcnt(0)
	global_atomic_cmpswap_x2 v[2:3], v11, v[12:15], s[36:37] offset:32 glc
	s_waitcnt vmcnt(0)
	v_cmp_ne_u64_e32 vcc, v[2:3], v[14:15]
	s_and_saveexec_b64 s[18:19], vcc
	s_cbranch_execz .LBB5_816
; %bb.814:
	s_mov_b64 s[20:21], 0
.LBB5_815:                              ; =>This Inner Loop Header: Depth=1
	s_sleep 1
	global_store_dwordx2 v[9:10], v[2:3], off
	v_mov_b32_e32 v0, s10
	v_mov_b32_e32 v1, s11
	s_waitcnt vmcnt(0)
	global_atomic_cmpswap_x2 v[0:1], v11, v[0:3], s[36:37] offset:32 glc
	s_waitcnt vmcnt(0)
	v_cmp_eq_u64_e32 vcc, v[0:1], v[2:3]
	v_mov_b32_e32 v3, v1
	s_or_b64 s[20:21], vcc, s[20:21]
	v_mov_b32_e32 v2, v0
	s_andn2_b64 exec, exec, s[20:21]
	s_cbranch_execnz .LBB5_815
.LBB5_816:
	s_or_b64 exec, exec, s[18:19]
	v_mov_b32_e32 v3, 0
	global_load_dwordx2 v[0:1], v3, s[36:37] offset:16
	s_mov_b64 s[18:19], exec
	v_mbcnt_lo_u32_b32 v2, s18, 0
	v_mbcnt_hi_u32_b32 v2, s19, v2
	v_cmp_eq_u32_e32 vcc, 0, v2
	s_and_saveexec_b64 s[20:21], vcc
	s_cbranch_execz .LBB5_818
; %bb.817:
	s_bcnt1_i32_b64 s15, s[18:19]
	v_mov_b32_e32 v2, s15
	s_waitcnt vmcnt(0)
	global_atomic_add_x2 v[0:1], v[2:3], off offset:8
.LBB5_818:
	s_or_b64 exec, exec, s[20:21]
	s_waitcnt vmcnt(0)
	global_load_dwordx2 v[2:3], v[0:1], off offset:16
	s_waitcnt vmcnt(0)
	v_cmp_eq_u64_e32 vcc, 0, v[2:3]
	s_cbranch_vccnz .LBB5_820
; %bb.819:
	global_load_dword v0, v[0:1], off offset:24
	v_mov_b32_e32 v1, 0
	s_waitcnt vmcnt(0)
	global_store_dwordx2 v[2:3], v[0:1], off
	v_and_b32_e32 v0, 0xffffff, v0
	v_readfirstlane_b32 m0, v0
	s_sendmsg sendmsg(MSG_INTERRUPT)
.LBB5_820:
	s_or_b64 exec, exec, s[16:17]
	s_branch .LBB5_824
.LBB5_821:                              ;   in Loop: Header=BB5_824 Depth=1
	s_or_b64 exec, exec, s[16:17]
	v_readfirstlane_b32 s15, v0
	s_cmp_eq_u32 s15, 0
	s_cbranch_scc1 .LBB5_823
; %bb.822:                              ;   in Loop: Header=BB5_824 Depth=1
	s_sleep 1
	s_cbranch_execnz .LBB5_824
	s_branch .LBB5_826
.LBB5_823:
	s_branch .LBB5_826
.LBB5_824:                              ; =>This Inner Loop Header: Depth=1
	v_mov_b32_e32 v0, 1
	s_and_saveexec_b64 s[16:17], s[4:5]
	s_cbranch_execz .LBB5_821
; %bb.825:                              ;   in Loop: Header=BB5_824 Depth=1
	global_load_dword v0, v[6:7], off offset:20 glc
	s_waitcnt vmcnt(0)
	buffer_wbinvl1_vol
	v_and_b32_e32 v0, 1, v0
	s_branch .LBB5_821
.LBB5_826:
	s_and_saveexec_b64 s[16:17], s[4:5]
	s_cbranch_execz .LBB5_829
; %bb.827:
	v_mov_b32_e32 v9, 0
	global_load_dwordx2 v[2:3], v9, s[36:37] offset:40
	global_load_dwordx2 v[10:11], v9, s[36:37] offset:24 glc
	global_load_dwordx2 v[6:7], v9, s[36:37]
	v_mov_b32_e32 v1, s11
	s_mov_b64 s[4:5], 0
	s_waitcnt vmcnt(2)
	v_add_co_u32_e32 v12, vcc, 1, v2
	v_addc_co_u32_e32 v13, vcc, 0, v3, vcc
	v_add_co_u32_e32 v0, vcc, s10, v12
	v_addc_co_u32_e32 v1, vcc, v13, v1, vcc
	v_cmp_eq_u64_e32 vcc, 0, v[0:1]
	v_cndmask_b32_e32 v1, v1, v13, vcc
	v_cndmask_b32_e32 v0, v0, v12, vcc
	v_and_b32_e32 v3, v1, v3
	v_and_b32_e32 v2, v0, v2
	v_mul_lo_u32 v3, v3, 24
	v_mul_hi_u32 v12, v2, 24
	v_mul_lo_u32 v13, v2, 24
	s_waitcnt vmcnt(1)
	v_mov_b32_e32 v2, v10
	v_add_u32_e32 v3, v12, v3
	s_waitcnt vmcnt(0)
	v_add_co_u32_e32 v6, vcc, v6, v13
	v_addc_co_u32_e32 v7, vcc, v7, v3, vcc
	global_store_dwordx2 v[6:7], v[10:11], off
	v_mov_b32_e32 v3, v11
	s_waitcnt vmcnt(0)
	global_atomic_cmpswap_x2 v[2:3], v9, v[0:3], s[36:37] offset:24 glc
	s_waitcnt vmcnt(0)
	v_cmp_ne_u64_e32 vcc, v[2:3], v[10:11]
	s_and_b64 exec, exec, vcc
	s_cbranch_execz .LBB5_829
.LBB5_828:                              ; =>This Inner Loop Header: Depth=1
	s_sleep 1
	global_store_dwordx2 v[6:7], v[2:3], off
	s_waitcnt vmcnt(0)
	global_atomic_cmpswap_x2 v[10:11], v9, v[0:3], s[36:37] offset:24 glc
	s_waitcnt vmcnt(0)
	v_cmp_eq_u64_e32 vcc, v[10:11], v[2:3]
	v_mov_b32_e32 v2, v10
	s_or_b64 s[4:5], vcc, s[4:5]
	v_mov_b32_e32 v3, v11
	s_andn2_b64 exec, exec, s[4:5]
	s_cbranch_execnz .LBB5_828
.LBB5_829:
	s_or_b64 exec, exec, s[16:17]
	v_readfirstlane_b32 s4, v51
	v_mov_b32_e32 v6, 0
	v_mov_b32_e32 v7, 0
	v_cmp_eq_u32_e64 s[4:5], s4, v51
	s_and_saveexec_b64 s[10:11], s[4:5]
	s_cbranch_execz .LBB5_835
; %bb.830:
	v_mov_b32_e32 v0, 0
	global_load_dwordx2 v[11:12], v0, s[36:37] offset:24 glc
	s_waitcnt vmcnt(0)
	buffer_wbinvl1_vol
	global_load_dwordx2 v[1:2], v0, s[36:37] offset:40
	global_load_dwordx2 v[6:7], v0, s[36:37]
	s_waitcnt vmcnt(1)
	v_and_b32_e32 v1, v1, v11
	v_and_b32_e32 v2, v2, v12
	v_mul_lo_u32 v2, v2, 24
	v_mul_hi_u32 v3, v1, 24
	v_mul_lo_u32 v1, v1, 24
	v_add_u32_e32 v2, v3, v2
	s_waitcnt vmcnt(0)
	v_add_co_u32_e32 v1, vcc, v6, v1
	v_addc_co_u32_e32 v2, vcc, v7, v2, vcc
	global_load_dwordx2 v[9:10], v[1:2], off glc
	s_waitcnt vmcnt(0)
	global_atomic_cmpswap_x2 v[6:7], v0, v[9:12], s[36:37] offset:24 glc
	s_waitcnt vmcnt(0)
	buffer_wbinvl1_vol
	v_cmp_ne_u64_e32 vcc, v[6:7], v[11:12]
	s_and_saveexec_b64 s[16:17], vcc
	s_cbranch_execz .LBB5_834
; %bb.831:
	s_mov_b64 s[18:19], 0
.LBB5_832:                              ; =>This Inner Loop Header: Depth=1
	s_sleep 1
	global_load_dwordx2 v[1:2], v0, s[36:37] offset:40
	global_load_dwordx2 v[9:10], v0, s[36:37]
	v_mov_b32_e32 v12, v7
	v_mov_b32_e32 v11, v6
	s_waitcnt vmcnt(1)
	v_and_b32_e32 v1, v1, v11
	s_waitcnt vmcnt(0)
	v_mad_u64_u32 v[6:7], s[20:21], v1, 24, v[9:10]
	v_and_b32_e32 v2, v2, v12
	v_mov_b32_e32 v1, v7
	v_mad_u64_u32 v[1:2], s[20:21], v2, 24, v[1:2]
	v_mov_b32_e32 v7, v1
	global_load_dwordx2 v[9:10], v[6:7], off glc
	s_waitcnt vmcnt(0)
	global_atomic_cmpswap_x2 v[6:7], v0, v[9:12], s[36:37] offset:24 glc
	s_waitcnt vmcnt(0)
	buffer_wbinvl1_vol
	v_cmp_eq_u64_e32 vcc, v[6:7], v[11:12]
	s_or_b64 s[18:19], vcc, s[18:19]
	s_andn2_b64 exec, exec, s[18:19]
	s_cbranch_execnz .LBB5_832
; %bb.833:
	s_or_b64 exec, exec, s[18:19]
.LBB5_834:
	s_or_b64 exec, exec, s[16:17]
.LBB5_835:
	s_or_b64 exec, exec, s[10:11]
	v_mov_b32_e32 v10, 0
	global_load_dwordx2 v[11:12], v10, s[36:37] offset:40
	global_load_dwordx4 v[0:3], v10, s[36:37]
	v_readfirstlane_b32 s10, v6
	v_readfirstlane_b32 s11, v7
	s_mov_b64 s[16:17], exec
	s_waitcnt vmcnt(1)
	v_readfirstlane_b32 s18, v11
	v_readfirstlane_b32 s19, v12
	s_and_b64 s[18:19], s[10:11], s[18:19]
	s_mul_i32 s15, s19, 24
	s_mul_hi_u32 s20, s18, 24
	s_mul_i32 s21, s18, 24
	s_add_i32 s15, s20, s15
	v_mov_b32_e32 v7, s15
	s_waitcnt vmcnt(0)
	v_add_co_u32_e32 v6, vcc, s21, v0
	v_addc_co_u32_e32 v7, vcc, v1, v7, vcc
	s_and_saveexec_b64 s[20:21], s[4:5]
	s_cbranch_execz .LBB5_837
; %bb.836:
	v_mov_b32_e32 v11, s16
	v_mov_b32_e32 v12, s17
	;; [unrolled: 1-line block ×4, first 2 shown]
	global_store_dwordx4 v[6:7], v[11:14], off offset:8
.LBB5_837:
	s_or_b64 exec, exec, s[20:21]
	s_lshl_b64 s[16:17], s[18:19], 12
	v_mov_b32_e32 v9, s17
	v_add_co_u32_e32 v2, vcc, s16, v2
	v_addc_co_u32_e32 v3, vcc, v3, v9, vcc
	s_mov_b32 s16, 0
	v_mov_b32_e32 v9, 33
	v_mov_b32_e32 v11, v10
	;; [unrolled: 1-line block ×3, first 2 shown]
	v_readfirstlane_b32 s20, v2
	v_readfirstlane_b32 s21, v3
	v_add_co_u32_e32 v13, vcc, v2, v50
	s_mov_b32 s17, s16
	s_mov_b32 s18, s16
	;; [unrolled: 1-line block ×3, first 2 shown]
	s_nop 0
	global_store_dwordx4 v50, v[9:12], s[20:21]
	v_addc_co_u32_e32 v14, vcc, 0, v3, vcc
	v_mov_b32_e32 v9, s16
	v_mov_b32_e32 v10, s17
	;; [unrolled: 1-line block ×4, first 2 shown]
	global_store_dwordx4 v50, v[9:12], s[20:21] offset:16
	global_store_dwordx4 v50, v[9:12], s[20:21] offset:32
	global_store_dwordx4 v50, v[9:12], s[20:21] offset:48
	s_and_saveexec_b64 s[16:17], s[4:5]
	s_cbranch_execz .LBB5_845
; %bb.838:
	v_mov_b32_e32 v11, 0
	global_load_dwordx2 v[17:18], v11, s[36:37] offset:32 glc
	global_load_dwordx2 v[2:3], v11, s[36:37] offset:40
	v_mov_b32_e32 v15, s10
	v_mov_b32_e32 v16, s11
	s_waitcnt vmcnt(0)
	v_readfirstlane_b32 s18, v2
	v_readfirstlane_b32 s19, v3
	s_and_b64 s[18:19], s[18:19], s[10:11]
	s_mul_i32 s15, s19, 24
	s_mul_hi_u32 s19, s18, 24
	s_mul_i32 s18, s18, 24
	s_add_i32 s15, s19, s15
	v_mov_b32_e32 v2, s15
	v_add_co_u32_e32 v9, vcc, s18, v0
	v_addc_co_u32_e32 v10, vcc, v1, v2, vcc
	global_store_dwordx2 v[9:10], v[17:18], off
	s_waitcnt vmcnt(0)
	global_atomic_cmpswap_x2 v[2:3], v11, v[15:18], s[36:37] offset:32 glc
	s_waitcnt vmcnt(0)
	v_cmp_ne_u64_e32 vcc, v[2:3], v[17:18]
	s_and_saveexec_b64 s[18:19], vcc
	s_cbranch_execz .LBB5_841
; %bb.839:
	s_mov_b64 s[20:21], 0
.LBB5_840:                              ; =>This Inner Loop Header: Depth=1
	s_sleep 1
	global_store_dwordx2 v[9:10], v[2:3], off
	v_mov_b32_e32 v0, s10
	v_mov_b32_e32 v1, s11
	s_waitcnt vmcnt(0)
	global_atomic_cmpswap_x2 v[0:1], v11, v[0:3], s[36:37] offset:32 glc
	s_waitcnt vmcnt(0)
	v_cmp_eq_u64_e32 vcc, v[0:1], v[2:3]
	v_mov_b32_e32 v3, v1
	s_or_b64 s[20:21], vcc, s[20:21]
	v_mov_b32_e32 v2, v0
	s_andn2_b64 exec, exec, s[20:21]
	s_cbranch_execnz .LBB5_840
.LBB5_841:
	s_or_b64 exec, exec, s[18:19]
	v_mov_b32_e32 v3, 0
	global_load_dwordx2 v[0:1], v3, s[36:37] offset:16
	s_mov_b64 s[18:19], exec
	v_mbcnt_lo_u32_b32 v2, s18, 0
	v_mbcnt_hi_u32_b32 v2, s19, v2
	v_cmp_eq_u32_e32 vcc, 0, v2
	s_and_saveexec_b64 s[20:21], vcc
	s_cbranch_execz .LBB5_843
; %bb.842:
	s_bcnt1_i32_b64 s15, s[18:19]
	v_mov_b32_e32 v2, s15
	s_waitcnt vmcnt(0)
	global_atomic_add_x2 v[0:1], v[2:3], off offset:8
.LBB5_843:
	s_or_b64 exec, exec, s[20:21]
	s_waitcnt vmcnt(0)
	global_load_dwordx2 v[2:3], v[0:1], off offset:16
	s_waitcnt vmcnt(0)
	v_cmp_eq_u64_e32 vcc, 0, v[2:3]
	s_cbranch_vccnz .LBB5_845
; %bb.844:
	global_load_dword v0, v[0:1], off offset:24
	v_mov_b32_e32 v1, 0
	s_waitcnt vmcnt(0)
	global_store_dwordx2 v[2:3], v[0:1], off
	v_and_b32_e32 v0, 0xffffff, v0
	v_readfirstlane_b32 m0, v0
	s_sendmsg sendmsg(MSG_INTERRUPT)
.LBB5_845:
	s_or_b64 exec, exec, s[16:17]
	s_branch .LBB5_849
.LBB5_846:                              ;   in Loop: Header=BB5_849 Depth=1
	s_or_b64 exec, exec, s[16:17]
	v_readfirstlane_b32 s15, v0
	s_cmp_eq_u32 s15, 0
	s_cbranch_scc1 .LBB5_848
; %bb.847:                              ;   in Loop: Header=BB5_849 Depth=1
	s_sleep 1
	s_cbranch_execnz .LBB5_849
	s_branch .LBB5_851
.LBB5_848:
	s_branch .LBB5_851
.LBB5_849:                              ; =>This Inner Loop Header: Depth=1
	v_mov_b32_e32 v0, 1
	s_and_saveexec_b64 s[16:17], s[4:5]
	s_cbranch_execz .LBB5_846
; %bb.850:                              ;   in Loop: Header=BB5_849 Depth=1
	global_load_dword v0, v[6:7], off offset:20 glc
	s_waitcnt vmcnt(0)
	buffer_wbinvl1_vol
	v_and_b32_e32 v0, 1, v0
	s_branch .LBB5_846
.LBB5_851:
	global_load_dwordx2 v[0:1], v[13:14], off
	s_and_saveexec_b64 s[16:17], s[4:5]
	s_cbranch_execz .LBB5_854
; %bb.852:
	v_mov_b32_e32 v6, 0
	global_load_dwordx2 v[2:3], v6, s[36:37] offset:40
	global_load_dwordx2 v[13:14], v6, s[36:37] offset:24 glc
	global_load_dwordx2 v[15:16], v6, s[36:37]
	v_mov_b32_e32 v7, s11
	s_mov_b64 s[4:5], 0
	s_waitcnt vmcnt(2)
	v_add_co_u32_e32 v11, vcc, 1, v2
	v_addc_co_u32_e32 v12, vcc, 0, v3, vcc
	v_add_co_u32_e32 v9, vcc, s10, v11
	v_addc_co_u32_e32 v10, vcc, v12, v7, vcc
	v_cmp_eq_u64_e32 vcc, 0, v[9:10]
	v_cndmask_b32_e32 v10, v10, v12, vcc
	v_cndmask_b32_e32 v9, v9, v11, vcc
	v_and_b32_e32 v3, v10, v3
	v_and_b32_e32 v2, v9, v2
	v_mul_lo_u32 v3, v3, 24
	v_mul_hi_u32 v7, v2, 24
	v_mul_lo_u32 v2, v2, 24
	s_waitcnt vmcnt(1)
	v_mov_b32_e32 v11, v13
	v_mov_b32_e32 v12, v14
	v_add_u32_e32 v3, v7, v3
	s_waitcnt vmcnt(0)
	v_add_co_u32_e32 v2, vcc, v15, v2
	v_addc_co_u32_e32 v3, vcc, v16, v3, vcc
	global_store_dwordx2 v[2:3], v[13:14], off
	s_waitcnt vmcnt(0)
	global_atomic_cmpswap_x2 v[11:12], v6, v[9:12], s[36:37] offset:24 glc
	s_waitcnt vmcnt(0)
	v_cmp_ne_u64_e32 vcc, v[11:12], v[13:14]
	s_and_b64 exec, exec, vcc
	s_cbranch_execz .LBB5_854
.LBB5_853:                              ; =>This Inner Loop Header: Depth=1
	s_sleep 1
	global_store_dwordx2 v[2:3], v[11:12], off
	s_waitcnt vmcnt(0)
	global_atomic_cmpswap_x2 v[13:14], v6, v[9:12], s[36:37] offset:24 glc
	s_waitcnt vmcnt(0)
	v_cmp_eq_u64_e32 vcc, v[13:14], v[11:12]
	v_mov_b32_e32 v11, v13
	s_or_b64 s[4:5], vcc, s[4:5]
	v_mov_b32_e32 v12, v14
	s_andn2_b64 exec, exec, s[4:5]
	s_cbranch_execnz .LBB5_853
.LBB5_854:
	s_or_b64 exec, exec, s[16:17]
	s_getpc_b64 s[10:11]
	s_add_u32 s10, s10, .str.7@rel32@lo+4
	s_addc_u32 s11, s11, .str.7@rel32@hi+12
	s_cmp_lg_u64 s[10:11], 0
	s_cbranch_scc0 .LBB5_939
; %bb.855:
	s_waitcnt vmcnt(0)
	v_and_b32_e32 v35, 2, v0
	v_mov_b32_e32 v3, 0
	v_and_b32_e32 v9, -3, v0
	v_mov_b32_e32 v10, v1
	s_mov_b64 s[16:17], 4
	v_mov_b32_e32 v13, 2
	v_mov_b32_e32 v14, 1
	s_branch .LBB5_857
.LBB5_856:                              ;   in Loop: Header=BB5_857 Depth=1
	s_or_b64 exec, exec, s[22:23]
	s_sub_u32 s16, s16, s18
	s_subb_u32 s17, s17, s19
	s_add_u32 s10, s10, s18
	s_addc_u32 s11, s11, s19
	s_cmp_lg_u64 s[16:17], 0
	s_cbranch_scc0 .LBB5_938
.LBB5_857:                              ; =>This Loop Header: Depth=1
                                        ;     Child Loop BB5_860 Depth 2
                                        ;     Child Loop BB5_867 Depth 2
	;; [unrolled: 1-line block ×11, first 2 shown]
	v_cmp_lt_u64_e64 s[4:5], s[16:17], 56
	v_cmp_gt_u64_e64 s[20:21], s[16:17], 7
	s_and_b64 s[4:5], s[4:5], exec
	s_cselect_b32 s19, s17, 0
	s_cselect_b32 s18, s16, 56
	s_and_b64 vcc, exec, s[20:21]
	s_cbranch_vccnz .LBB5_862
; %bb.858:                              ;   in Loop: Header=BB5_857 Depth=1
	v_mov_b32_e32 v17, 0
	s_cmp_eq_u64 s[16:17], 0
	v_mov_b32_e32 v18, 0
	s_mov_b64 s[4:5], 0
	s_cbranch_scc1 .LBB5_861
; %bb.859:                              ;   in Loop: Header=BB5_857 Depth=1
	v_mov_b32_e32 v17, 0
	s_lshl_b64 s[20:21], s[18:19], 3
	s_mov_b64 s[22:23], 0
	v_mov_b32_e32 v18, 0
	s_mov_b64 s[24:25], s[10:11]
.LBB5_860:                              ;   Parent Loop BB5_857 Depth=1
                                        ; =>  This Inner Loop Header: Depth=2
	global_load_ubyte v2, v3, s[24:25]
	s_waitcnt vmcnt(0)
	v_and_b32_e32 v2, 0xffff, v2
	v_lshlrev_b64 v[6:7], s22, v[2:3]
	s_add_u32 s22, s22, 8
	s_addc_u32 s23, s23, 0
	s_add_u32 s24, s24, 1
	s_addc_u32 s25, s25, 0
	v_or_b32_e32 v17, v6, v17
	s_cmp_lg_u32 s20, s22
	v_or_b32_e32 v18, v7, v18
	s_cbranch_scc1 .LBB5_860
.LBB5_861:                              ;   in Loop: Header=BB5_857 Depth=1
	s_mov_b32 s15, 0
	s_andn2_b64 vcc, exec, s[4:5]
	s_mov_b64 s[4:5], s[10:11]
	s_cbranch_vccz .LBB5_863
	s_branch .LBB5_864
.LBB5_862:                              ;   in Loop: Header=BB5_857 Depth=1
                                        ; implicit-def: $vgpr17_vgpr18
                                        ; implicit-def: $sgpr15
	s_mov_b64 s[4:5], s[10:11]
.LBB5_863:                              ;   in Loop: Header=BB5_857 Depth=1
	global_load_dwordx2 v[17:18], v3, s[10:11]
	s_add_i32 s15, s18, -8
	s_add_u32 s4, s10, 8
	s_addc_u32 s5, s11, 0
.LBB5_864:                              ;   in Loop: Header=BB5_857 Depth=1
	s_cmp_gt_u32 s15, 7
	s_cbranch_scc1 .LBB5_868
; %bb.865:                              ;   in Loop: Header=BB5_857 Depth=1
	s_cmp_eq_u32 s15, 0
	s_cbranch_scc1 .LBB5_869
; %bb.866:                              ;   in Loop: Header=BB5_857 Depth=1
	v_mov_b32_e32 v19, 0
	s_mov_b64 s[20:21], 0
	v_mov_b32_e32 v20, 0
	s_mov_b64 s[22:23], 0
.LBB5_867:                              ;   Parent Loop BB5_857 Depth=1
                                        ; =>  This Inner Loop Header: Depth=2
	s_add_u32 s24, s4, s22
	s_addc_u32 s25, s5, s23
	global_load_ubyte v2, v3, s[24:25]
	s_add_u32 s22, s22, 1
	s_addc_u32 s23, s23, 0
	s_waitcnt vmcnt(0)
	v_and_b32_e32 v2, 0xffff, v2
	v_lshlrev_b64 v[6:7], s20, v[2:3]
	s_add_u32 s20, s20, 8
	s_addc_u32 s21, s21, 0
	v_or_b32_e32 v19, v6, v19
	s_cmp_lg_u32 s15, s22
	v_or_b32_e32 v20, v7, v20
	s_cbranch_scc1 .LBB5_867
	s_branch .LBB5_870
.LBB5_868:                              ;   in Loop: Header=BB5_857 Depth=1
                                        ; implicit-def: $vgpr19_vgpr20
                                        ; implicit-def: $sgpr24
	s_branch .LBB5_871
.LBB5_869:                              ;   in Loop: Header=BB5_857 Depth=1
	v_mov_b32_e32 v19, 0
	v_mov_b32_e32 v20, 0
.LBB5_870:                              ;   in Loop: Header=BB5_857 Depth=1
	s_mov_b32 s24, 0
	s_cbranch_execnz .LBB5_872
.LBB5_871:                              ;   in Loop: Header=BB5_857 Depth=1
	global_load_dwordx2 v[19:20], v3, s[4:5]
	s_add_i32 s24, s15, -8
	s_add_u32 s4, s4, 8
	s_addc_u32 s5, s5, 0
.LBB5_872:                              ;   in Loop: Header=BB5_857 Depth=1
	s_cmp_gt_u32 s24, 7
	s_cbranch_scc1 .LBB5_876
; %bb.873:                              ;   in Loop: Header=BB5_857 Depth=1
	s_cmp_eq_u32 s24, 0
	s_cbranch_scc1 .LBB5_877
; %bb.874:                              ;   in Loop: Header=BB5_857 Depth=1
	v_mov_b32_e32 v21, 0
	s_mov_b64 s[20:21], 0
	v_mov_b32_e32 v22, 0
	s_mov_b64 s[22:23], 0
.LBB5_875:                              ;   Parent Loop BB5_857 Depth=1
                                        ; =>  This Inner Loop Header: Depth=2
	s_add_u32 s26, s4, s22
	s_addc_u32 s27, s5, s23
	global_load_ubyte v2, v3, s[26:27]
	s_add_u32 s22, s22, 1
	s_addc_u32 s23, s23, 0
	s_waitcnt vmcnt(0)
	v_and_b32_e32 v2, 0xffff, v2
	v_lshlrev_b64 v[6:7], s20, v[2:3]
	s_add_u32 s20, s20, 8
	s_addc_u32 s21, s21, 0
	v_or_b32_e32 v21, v6, v21
	s_cmp_lg_u32 s24, s22
	v_or_b32_e32 v22, v7, v22
	s_cbranch_scc1 .LBB5_875
	s_branch .LBB5_878
.LBB5_876:                              ;   in Loop: Header=BB5_857 Depth=1
                                        ; implicit-def: $sgpr15
	s_branch .LBB5_879
.LBB5_877:                              ;   in Loop: Header=BB5_857 Depth=1
	v_mov_b32_e32 v21, 0
	v_mov_b32_e32 v22, 0
.LBB5_878:                              ;   in Loop: Header=BB5_857 Depth=1
	s_mov_b32 s15, 0
	s_cbranch_execnz .LBB5_880
.LBB5_879:                              ;   in Loop: Header=BB5_857 Depth=1
	global_load_dwordx2 v[21:22], v3, s[4:5]
	s_add_i32 s15, s24, -8
	s_add_u32 s4, s4, 8
	s_addc_u32 s5, s5, 0
.LBB5_880:                              ;   in Loop: Header=BB5_857 Depth=1
	s_cmp_gt_u32 s15, 7
	s_cbranch_scc1 .LBB5_884
; %bb.881:                              ;   in Loop: Header=BB5_857 Depth=1
	s_cmp_eq_u32 s15, 0
	s_cbranch_scc1 .LBB5_885
; %bb.882:                              ;   in Loop: Header=BB5_857 Depth=1
	v_mov_b32_e32 v23, 0
	s_mov_b64 s[20:21], 0
	v_mov_b32_e32 v24, 0
	s_mov_b64 s[22:23], 0
.LBB5_883:                              ;   Parent Loop BB5_857 Depth=1
                                        ; =>  This Inner Loop Header: Depth=2
	s_add_u32 s24, s4, s22
	s_addc_u32 s25, s5, s23
	global_load_ubyte v2, v3, s[24:25]
	s_add_u32 s22, s22, 1
	s_addc_u32 s23, s23, 0
	s_waitcnt vmcnt(0)
	v_and_b32_e32 v2, 0xffff, v2
	v_lshlrev_b64 v[6:7], s20, v[2:3]
	s_add_u32 s20, s20, 8
	s_addc_u32 s21, s21, 0
	v_or_b32_e32 v23, v6, v23
	s_cmp_lg_u32 s15, s22
	v_or_b32_e32 v24, v7, v24
	s_cbranch_scc1 .LBB5_883
	s_branch .LBB5_886
.LBB5_884:                              ;   in Loop: Header=BB5_857 Depth=1
                                        ; implicit-def: $vgpr23_vgpr24
                                        ; implicit-def: $sgpr24
	s_branch .LBB5_887
.LBB5_885:                              ;   in Loop: Header=BB5_857 Depth=1
	v_mov_b32_e32 v23, 0
	v_mov_b32_e32 v24, 0
.LBB5_886:                              ;   in Loop: Header=BB5_857 Depth=1
	s_mov_b32 s24, 0
	s_cbranch_execnz .LBB5_888
.LBB5_887:                              ;   in Loop: Header=BB5_857 Depth=1
	global_load_dwordx2 v[23:24], v3, s[4:5]
	s_add_i32 s24, s15, -8
	s_add_u32 s4, s4, 8
	s_addc_u32 s5, s5, 0
.LBB5_888:                              ;   in Loop: Header=BB5_857 Depth=1
	s_cmp_gt_u32 s24, 7
	s_cbranch_scc1 .LBB5_892
; %bb.889:                              ;   in Loop: Header=BB5_857 Depth=1
	s_cmp_eq_u32 s24, 0
	s_cbranch_scc1 .LBB5_893
; %bb.890:                              ;   in Loop: Header=BB5_857 Depth=1
	v_mov_b32_e32 v25, 0
	s_mov_b64 s[20:21], 0
	v_mov_b32_e32 v26, 0
	s_mov_b64 s[22:23], 0
.LBB5_891:                              ;   Parent Loop BB5_857 Depth=1
                                        ; =>  This Inner Loop Header: Depth=2
	s_add_u32 s26, s4, s22
	s_addc_u32 s27, s5, s23
	global_load_ubyte v2, v3, s[26:27]
	s_add_u32 s22, s22, 1
	s_addc_u32 s23, s23, 0
	s_waitcnt vmcnt(0)
	v_and_b32_e32 v2, 0xffff, v2
	v_lshlrev_b64 v[6:7], s20, v[2:3]
	s_add_u32 s20, s20, 8
	s_addc_u32 s21, s21, 0
	v_or_b32_e32 v25, v6, v25
	s_cmp_lg_u32 s24, s22
	v_or_b32_e32 v26, v7, v26
	s_cbranch_scc1 .LBB5_891
	s_branch .LBB5_894
.LBB5_892:                              ;   in Loop: Header=BB5_857 Depth=1
                                        ; implicit-def: $sgpr15
	s_branch .LBB5_895
.LBB5_893:                              ;   in Loop: Header=BB5_857 Depth=1
	v_mov_b32_e32 v25, 0
	v_mov_b32_e32 v26, 0
.LBB5_894:                              ;   in Loop: Header=BB5_857 Depth=1
	s_mov_b32 s15, 0
	s_cbranch_execnz .LBB5_896
.LBB5_895:                              ;   in Loop: Header=BB5_857 Depth=1
	global_load_dwordx2 v[25:26], v3, s[4:5]
	s_add_i32 s15, s24, -8
	s_add_u32 s4, s4, 8
	s_addc_u32 s5, s5, 0
.LBB5_896:                              ;   in Loop: Header=BB5_857 Depth=1
	s_cmp_gt_u32 s15, 7
	s_cbranch_scc1 .LBB5_900
; %bb.897:                              ;   in Loop: Header=BB5_857 Depth=1
	s_cmp_eq_u32 s15, 0
	s_cbranch_scc1 .LBB5_901
; %bb.898:                              ;   in Loop: Header=BB5_857 Depth=1
	v_mov_b32_e32 v27, 0
	s_mov_b64 s[20:21], 0
	v_mov_b32_e32 v28, 0
	s_mov_b64 s[22:23], 0
.LBB5_899:                              ;   Parent Loop BB5_857 Depth=1
                                        ; =>  This Inner Loop Header: Depth=2
	s_add_u32 s24, s4, s22
	s_addc_u32 s25, s5, s23
	global_load_ubyte v2, v3, s[24:25]
	s_add_u32 s22, s22, 1
	s_addc_u32 s23, s23, 0
	s_waitcnt vmcnt(0)
	v_and_b32_e32 v2, 0xffff, v2
	v_lshlrev_b64 v[6:7], s20, v[2:3]
	s_add_u32 s20, s20, 8
	s_addc_u32 s21, s21, 0
	v_or_b32_e32 v27, v6, v27
	s_cmp_lg_u32 s15, s22
	v_or_b32_e32 v28, v7, v28
	s_cbranch_scc1 .LBB5_899
	s_branch .LBB5_902
.LBB5_900:                              ;   in Loop: Header=BB5_857 Depth=1
                                        ; implicit-def: $vgpr27_vgpr28
                                        ; implicit-def: $sgpr24
	s_branch .LBB5_903
.LBB5_901:                              ;   in Loop: Header=BB5_857 Depth=1
	v_mov_b32_e32 v27, 0
	v_mov_b32_e32 v28, 0
.LBB5_902:                              ;   in Loop: Header=BB5_857 Depth=1
	s_mov_b32 s24, 0
	s_cbranch_execnz .LBB5_904
.LBB5_903:                              ;   in Loop: Header=BB5_857 Depth=1
	global_load_dwordx2 v[27:28], v3, s[4:5]
	s_add_i32 s24, s15, -8
	s_add_u32 s4, s4, 8
	s_addc_u32 s5, s5, 0
.LBB5_904:                              ;   in Loop: Header=BB5_857 Depth=1
	s_cmp_gt_u32 s24, 7
	s_cbranch_scc1 .LBB5_908
; %bb.905:                              ;   in Loop: Header=BB5_857 Depth=1
	s_cmp_eq_u32 s24, 0
	s_cbranch_scc1 .LBB5_909
; %bb.906:                              ;   in Loop: Header=BB5_857 Depth=1
	v_mov_b32_e32 v29, 0
	s_mov_b64 s[20:21], 0
	v_mov_b32_e32 v30, 0
	s_mov_b64 s[22:23], s[4:5]
.LBB5_907:                              ;   Parent Loop BB5_857 Depth=1
                                        ; =>  This Inner Loop Header: Depth=2
	global_load_ubyte v2, v3, s[22:23]
	s_add_i32 s24, s24, -1
	s_waitcnt vmcnt(0)
	v_and_b32_e32 v2, 0xffff, v2
	v_lshlrev_b64 v[6:7], s20, v[2:3]
	s_add_u32 s20, s20, 8
	s_addc_u32 s21, s21, 0
	s_add_u32 s22, s22, 1
	s_addc_u32 s23, s23, 0
	v_or_b32_e32 v29, v6, v29
	s_cmp_lg_u32 s24, 0
	v_or_b32_e32 v30, v7, v30
	s_cbranch_scc1 .LBB5_907
	s_branch .LBB5_910
.LBB5_908:                              ;   in Loop: Header=BB5_857 Depth=1
	s_branch .LBB5_911
.LBB5_909:                              ;   in Loop: Header=BB5_857 Depth=1
	v_mov_b32_e32 v29, 0
	v_mov_b32_e32 v30, 0
.LBB5_910:                              ;   in Loop: Header=BB5_857 Depth=1
	s_cbranch_execnz .LBB5_912
.LBB5_911:                              ;   in Loop: Header=BB5_857 Depth=1
	global_load_dwordx2 v[29:30], v3, s[4:5]
.LBB5_912:                              ;   in Loop: Header=BB5_857 Depth=1
	v_readfirstlane_b32 s4, v51
	v_mov_b32_e32 v6, 0
	v_mov_b32_e32 v7, 0
	v_cmp_eq_u32_e64 s[4:5], s4, v51
	s_and_saveexec_b64 s[20:21], s[4:5]
	s_cbranch_execz .LBB5_918
; %bb.913:                              ;   in Loop: Header=BB5_857 Depth=1
	global_load_dwordx2 v[33:34], v3, s[36:37] offset:24 glc
	s_waitcnt vmcnt(0)
	buffer_wbinvl1_vol
	global_load_dwordx2 v[6:7], v3, s[36:37] offset:40
	global_load_dwordx2 v[11:12], v3, s[36:37]
	s_waitcnt vmcnt(1)
	v_and_b32_e32 v2, v6, v33
	v_and_b32_e32 v6, v7, v34
	v_mul_lo_u32 v6, v6, 24
	v_mul_hi_u32 v7, v2, 24
	v_mul_lo_u32 v2, v2, 24
	v_add_u32_e32 v7, v7, v6
	s_waitcnt vmcnt(0)
	v_add_co_u32_e32 v6, vcc, v11, v2
	v_addc_co_u32_e32 v7, vcc, v12, v7, vcc
	global_load_dwordx2 v[31:32], v[6:7], off glc
	s_waitcnt vmcnt(0)
	global_atomic_cmpswap_x2 v[6:7], v3, v[31:34], s[36:37] offset:24 glc
	s_waitcnt vmcnt(0)
	buffer_wbinvl1_vol
	v_cmp_ne_u64_e32 vcc, v[6:7], v[33:34]
	s_and_saveexec_b64 s[22:23], vcc
	s_cbranch_execz .LBB5_917
; %bb.914:                              ;   in Loop: Header=BB5_857 Depth=1
	s_mov_b64 s[24:25], 0
.LBB5_915:                              ;   Parent Loop BB5_857 Depth=1
                                        ; =>  This Inner Loop Header: Depth=2
	s_sleep 1
	global_load_dwordx2 v[11:12], v3, s[36:37] offset:40
	global_load_dwordx2 v[15:16], v3, s[36:37]
	v_mov_b32_e32 v34, v7
	v_mov_b32_e32 v33, v6
	s_waitcnt vmcnt(1)
	v_and_b32_e32 v2, v11, v33
	s_waitcnt vmcnt(0)
	v_mad_u64_u32 v[6:7], s[26:27], v2, 24, v[15:16]
	v_and_b32_e32 v11, v12, v34
	v_mov_b32_e32 v2, v7
	v_mad_u64_u32 v[11:12], s[26:27], v11, 24, v[2:3]
	v_mov_b32_e32 v7, v11
	global_load_dwordx2 v[31:32], v[6:7], off glc
	s_waitcnt vmcnt(0)
	global_atomic_cmpswap_x2 v[6:7], v3, v[31:34], s[36:37] offset:24 glc
	s_waitcnt vmcnt(0)
	buffer_wbinvl1_vol
	v_cmp_eq_u64_e32 vcc, v[6:7], v[33:34]
	s_or_b64 s[24:25], vcc, s[24:25]
	s_andn2_b64 exec, exec, s[24:25]
	s_cbranch_execnz .LBB5_915
; %bb.916:                              ;   in Loop: Header=BB5_857 Depth=1
	s_or_b64 exec, exec, s[24:25]
.LBB5_917:                              ;   in Loop: Header=BB5_857 Depth=1
	s_or_b64 exec, exec, s[22:23]
.LBB5_918:                              ;   in Loop: Header=BB5_857 Depth=1
	s_or_b64 exec, exec, s[20:21]
	global_load_dwordx2 v[11:12], v3, s[36:37] offset:40
	global_load_dwordx4 v[31:34], v3, s[36:37]
	v_readfirstlane_b32 s20, v6
	v_readfirstlane_b32 s21, v7
	s_mov_b64 s[22:23], exec
	s_waitcnt vmcnt(1)
	v_readfirstlane_b32 s24, v11
	v_readfirstlane_b32 s25, v12
	s_and_b64 s[24:25], s[20:21], s[24:25]
	s_mul_i32 s15, s25, 24
	s_mul_hi_u32 s26, s24, 24
	s_mul_i32 s27, s24, 24
	s_add_i32 s15, s26, s15
	v_mov_b32_e32 v2, s15
	s_waitcnt vmcnt(0)
	v_add_co_u32_e32 v6, vcc, s27, v31
	v_addc_co_u32_e32 v7, vcc, v32, v2, vcc
	s_and_saveexec_b64 s[26:27], s[4:5]
	s_cbranch_execz .LBB5_920
; %bb.919:                              ;   in Loop: Header=BB5_857 Depth=1
	v_mov_b32_e32 v11, s22
	v_mov_b32_e32 v12, s23
	global_store_dwordx4 v[6:7], v[11:14], off offset:8
.LBB5_920:                              ;   in Loop: Header=BB5_857 Depth=1
	s_or_b64 exec, exec, s[26:27]
	s_lshl_b64 s[22:23], s[24:25], 12
	v_mov_b32_e32 v2, s23
	v_add_co_u32_e32 v33, vcc, s22, v33
	v_addc_co_u32_e32 v34, vcc, v34, v2, vcc
	v_cmp_gt_u64_e64 vcc, s[16:17], 56
	v_or_b32_e32 v2, 0, v10
	v_or_b32_e32 v11, v9, v35
	s_lshl_b32 s15, s18, 2
	v_cndmask_b32_e32 v16, v2, v10, vcc
	v_cndmask_b32_e32 v2, v11, v9, vcc
	s_add_i32 s15, s15, 28
	s_and_b32 s15, s15, 0x1e0
	v_and_b32_e32 v2, 0xffffff1f, v2
	v_or_b32_e32 v15, s15, v2
	v_readfirstlane_b32 s22, v33
	v_readfirstlane_b32 s23, v34
	s_nop 4
	global_store_dwordx4 v50, v[15:18], s[22:23]
	global_store_dwordx4 v50, v[19:22], s[22:23] offset:16
	global_store_dwordx4 v50, v[23:26], s[22:23] offset:32
	;; [unrolled: 1-line block ×3, first 2 shown]
	s_and_saveexec_b64 s[22:23], s[4:5]
	s_cbranch_execz .LBB5_928
; %bb.921:                              ;   in Loop: Header=BB5_857 Depth=1
	global_load_dwordx2 v[19:20], v3, s[36:37] offset:32 glc
	global_load_dwordx2 v[9:10], v3, s[36:37] offset:40
	v_mov_b32_e32 v17, s20
	v_mov_b32_e32 v18, s21
	s_waitcnt vmcnt(0)
	v_readfirstlane_b32 s24, v9
	v_readfirstlane_b32 s25, v10
	s_and_b64 s[24:25], s[24:25], s[20:21]
	s_mul_i32 s15, s25, 24
	s_mul_hi_u32 s25, s24, 24
	s_mul_i32 s24, s24, 24
	s_add_i32 s15, s25, s15
	v_mov_b32_e32 v2, s15
	v_add_co_u32_e32 v15, vcc, s24, v31
	v_addc_co_u32_e32 v16, vcc, v32, v2, vcc
	global_store_dwordx2 v[15:16], v[19:20], off
	s_waitcnt vmcnt(0)
	global_atomic_cmpswap_x2 v[11:12], v3, v[17:20], s[36:37] offset:32 glc
	s_waitcnt vmcnt(0)
	v_cmp_ne_u64_e32 vcc, v[11:12], v[19:20]
	s_and_saveexec_b64 s[24:25], vcc
	s_cbranch_execz .LBB5_924
; %bb.922:                              ;   in Loop: Header=BB5_857 Depth=1
	s_mov_b64 s[26:27], 0
.LBB5_923:                              ;   Parent Loop BB5_857 Depth=1
                                        ; =>  This Inner Loop Header: Depth=2
	s_sleep 1
	global_store_dwordx2 v[15:16], v[11:12], off
	v_mov_b32_e32 v9, s20
	v_mov_b32_e32 v10, s21
	s_waitcnt vmcnt(0)
	global_atomic_cmpswap_x2 v[9:10], v3, v[9:12], s[36:37] offset:32 glc
	s_waitcnt vmcnt(0)
	v_cmp_eq_u64_e32 vcc, v[9:10], v[11:12]
	v_mov_b32_e32 v12, v10
	s_or_b64 s[26:27], vcc, s[26:27]
	v_mov_b32_e32 v11, v9
	s_andn2_b64 exec, exec, s[26:27]
	s_cbranch_execnz .LBB5_923
.LBB5_924:                              ;   in Loop: Header=BB5_857 Depth=1
	s_or_b64 exec, exec, s[24:25]
	global_load_dwordx2 v[9:10], v3, s[36:37] offset:16
	s_mov_b64 s[26:27], exec
	v_mbcnt_lo_u32_b32 v2, s26, 0
	v_mbcnt_hi_u32_b32 v2, s27, v2
	v_cmp_eq_u32_e32 vcc, 0, v2
	s_and_saveexec_b64 s[24:25], vcc
	s_cbranch_execz .LBB5_926
; %bb.925:                              ;   in Loop: Header=BB5_857 Depth=1
	s_bcnt1_i32_b64 s15, s[26:27]
	v_mov_b32_e32 v2, s15
	s_waitcnt vmcnt(0)
	global_atomic_add_x2 v[9:10], v[2:3], off offset:8
.LBB5_926:                              ;   in Loop: Header=BB5_857 Depth=1
	s_or_b64 exec, exec, s[24:25]
	s_waitcnt vmcnt(0)
	global_load_dwordx2 v[11:12], v[9:10], off offset:16
	s_waitcnt vmcnt(0)
	v_cmp_eq_u64_e32 vcc, 0, v[11:12]
	s_cbranch_vccnz .LBB5_928
; %bb.927:                              ;   in Loop: Header=BB5_857 Depth=1
	global_load_dword v2, v[9:10], off offset:24
	s_waitcnt vmcnt(0)
	global_store_dwordx2 v[11:12], v[2:3], off
	v_and_b32_e32 v2, 0xffffff, v2
	v_readfirstlane_b32 m0, v2
	s_sendmsg sendmsg(MSG_INTERRUPT)
.LBB5_928:                              ;   in Loop: Header=BB5_857 Depth=1
	s_or_b64 exec, exec, s[22:23]
	v_add_co_u32_e32 v9, vcc, v33, v50
	v_addc_co_u32_e32 v10, vcc, 0, v34, vcc
	s_branch .LBB5_932
.LBB5_929:                              ;   in Loop: Header=BB5_932 Depth=2
	s_or_b64 exec, exec, s[22:23]
	v_readfirstlane_b32 s15, v2
	s_cmp_eq_u32 s15, 0
	s_cbranch_scc1 .LBB5_931
; %bb.930:                              ;   in Loop: Header=BB5_932 Depth=2
	s_sleep 1
	s_cbranch_execnz .LBB5_932
	s_branch .LBB5_934
.LBB5_931:                              ;   in Loop: Header=BB5_857 Depth=1
	s_branch .LBB5_934
.LBB5_932:                              ;   Parent Loop BB5_857 Depth=1
                                        ; =>  This Inner Loop Header: Depth=2
	v_mov_b32_e32 v2, 1
	s_and_saveexec_b64 s[22:23], s[4:5]
	s_cbranch_execz .LBB5_929
; %bb.933:                              ;   in Loop: Header=BB5_932 Depth=2
	global_load_dword v2, v[6:7], off offset:20 glc
	s_waitcnt vmcnt(0)
	buffer_wbinvl1_vol
	v_and_b32_e32 v2, 1, v2
	s_branch .LBB5_929
.LBB5_934:                              ;   in Loop: Header=BB5_857 Depth=1
	global_load_dwordx4 v[9:12], v[9:10], off
	s_and_saveexec_b64 s[22:23], s[4:5]
	s_cbranch_execz .LBB5_856
; %bb.935:                              ;   in Loop: Header=BB5_857 Depth=1
	global_load_dwordx2 v[6:7], v3, s[36:37] offset:40
	global_load_dwordx2 v[11:12], v3, s[36:37] offset:24 glc
	global_load_dwordx2 v[18:19], v3, s[36:37]
	v_mov_b32_e32 v2, s21
	s_waitcnt vmcnt(2)
	v_add_co_u32_e32 v17, vcc, 1, v6
	v_addc_co_u32_e32 v20, vcc, 0, v7, vcc
	v_add_co_u32_e32 v15, vcc, s20, v17
	v_addc_co_u32_e32 v16, vcc, v20, v2, vcc
	v_cmp_eq_u64_e32 vcc, 0, v[15:16]
	v_cndmask_b32_e32 v16, v16, v20, vcc
	v_cndmask_b32_e32 v15, v15, v17, vcc
	v_and_b32_e32 v2, v16, v7
	v_and_b32_e32 v6, v15, v6
	v_mul_lo_u32 v2, v2, 24
	v_mul_hi_u32 v7, v6, 24
	v_mul_lo_u32 v6, v6, 24
	s_waitcnt vmcnt(1)
	v_mov_b32_e32 v17, v11
	v_add_u32_e32 v2, v7, v2
	s_waitcnt vmcnt(0)
	v_add_co_u32_e32 v6, vcc, v18, v6
	v_addc_co_u32_e32 v7, vcc, v19, v2, vcc
	global_store_dwordx2 v[6:7], v[11:12], off
	v_mov_b32_e32 v18, v12
	s_waitcnt vmcnt(0)
	global_atomic_cmpswap_x2 v[17:18], v3, v[15:18], s[36:37] offset:24 glc
	s_waitcnt vmcnt(0)
	v_cmp_ne_u64_e32 vcc, v[17:18], v[11:12]
	s_and_b64 exec, exec, vcc
	s_cbranch_execz .LBB5_856
; %bb.936:                              ;   in Loop: Header=BB5_857 Depth=1
	s_mov_b64 s[4:5], 0
.LBB5_937:                              ;   Parent Loop BB5_857 Depth=1
                                        ; =>  This Inner Loop Header: Depth=2
	s_sleep 1
	global_store_dwordx2 v[6:7], v[17:18], off
	s_waitcnt vmcnt(0)
	global_atomic_cmpswap_x2 v[11:12], v3, v[15:18], s[36:37] offset:24 glc
	s_waitcnt vmcnt(0)
	v_cmp_eq_u64_e32 vcc, v[11:12], v[17:18]
	v_mov_b32_e32 v18, v12
	s_or_b64 s[4:5], vcc, s[4:5]
	v_mov_b32_e32 v17, v11
	s_andn2_b64 exec, exec, s[4:5]
	s_cbranch_execnz .LBB5_937
	s_branch .LBB5_856
.LBB5_938:
	s_branch .LBB5_966
.LBB5_939:
                                        ; implicit-def: $vgpr9_vgpr10
	s_cbranch_execz .LBB5_966
; %bb.940:
	v_readfirstlane_b32 s4, v51
	v_mov_b32_e32 v6, 0
	v_mov_b32_e32 v7, 0
	v_cmp_eq_u32_e64 s[4:5], s4, v51
	s_and_saveexec_b64 s[10:11], s[4:5]
	s_cbranch_execz .LBB5_946
; %bb.941:
	v_mov_b32_e32 v2, 0
	global_load_dwordx2 v[11:12], v2, s[36:37] offset:24 glc
	s_waitcnt vmcnt(0)
	buffer_wbinvl1_vol
	global_load_dwordx2 v[6:7], v2, s[36:37] offset:40
	global_load_dwordx2 v[9:10], v2, s[36:37]
	s_waitcnt vmcnt(1)
	v_and_b32_e32 v3, v6, v11
	v_and_b32_e32 v6, v7, v12
	v_mul_lo_u32 v6, v6, 24
	v_mul_hi_u32 v7, v3, 24
	v_mul_lo_u32 v3, v3, 24
	v_add_u32_e32 v7, v7, v6
	s_waitcnt vmcnt(0)
	v_add_co_u32_e32 v6, vcc, v9, v3
	v_addc_co_u32_e32 v7, vcc, v10, v7, vcc
	global_load_dwordx2 v[9:10], v[6:7], off glc
	s_waitcnt vmcnt(0)
	global_atomic_cmpswap_x2 v[6:7], v2, v[9:12], s[36:37] offset:24 glc
	s_waitcnt vmcnt(0)
	buffer_wbinvl1_vol
	v_cmp_ne_u64_e32 vcc, v[6:7], v[11:12]
	s_and_saveexec_b64 s[16:17], vcc
	s_cbranch_execz .LBB5_945
; %bb.942:
	s_mov_b64 s[18:19], 0
.LBB5_943:                              ; =>This Inner Loop Header: Depth=1
	s_sleep 1
	global_load_dwordx2 v[9:10], v2, s[36:37] offset:40
	global_load_dwordx2 v[13:14], v2, s[36:37]
	v_mov_b32_e32 v12, v7
	v_mov_b32_e32 v11, v6
	s_waitcnt vmcnt(1)
	v_and_b32_e32 v3, v9, v11
	s_waitcnt vmcnt(0)
	v_mad_u64_u32 v[6:7], s[20:21], v3, 24, v[13:14]
	v_and_b32_e32 v9, v10, v12
	v_mov_b32_e32 v3, v7
	v_mad_u64_u32 v[9:10], s[20:21], v9, 24, v[3:4]
	v_mov_b32_e32 v7, v9
	global_load_dwordx2 v[9:10], v[6:7], off glc
	s_waitcnt vmcnt(0)
	global_atomic_cmpswap_x2 v[6:7], v2, v[9:12], s[36:37] offset:24 glc
	s_waitcnt vmcnt(0)
	buffer_wbinvl1_vol
	v_cmp_eq_u64_e32 vcc, v[6:7], v[11:12]
	s_or_b64 s[18:19], vcc, s[18:19]
	s_andn2_b64 exec, exec, s[18:19]
	s_cbranch_execnz .LBB5_943
; %bb.944:
	s_or_b64 exec, exec, s[18:19]
.LBB5_945:
	s_or_b64 exec, exec, s[16:17]
.LBB5_946:
	s_or_b64 exec, exec, s[10:11]
	v_mov_b32_e32 v2, 0
	global_load_dwordx2 v[13:14], v2, s[36:37] offset:40
	global_load_dwordx4 v[9:12], v2, s[36:37]
	v_readfirstlane_b32 s10, v6
	v_readfirstlane_b32 s11, v7
	s_mov_b64 s[16:17], exec
	s_waitcnt vmcnt(1)
	v_readfirstlane_b32 s18, v13
	v_readfirstlane_b32 s19, v14
	s_and_b64 s[18:19], s[10:11], s[18:19]
	s_mul_i32 s15, s19, 24
	s_mul_hi_u32 s20, s18, 24
	s_mul_i32 s21, s18, 24
	s_add_i32 s15, s20, s15
	v_mov_b32_e32 v3, s15
	s_waitcnt vmcnt(0)
	v_add_co_u32_e32 v6, vcc, s21, v9
	v_addc_co_u32_e32 v7, vcc, v10, v3, vcc
	s_and_saveexec_b64 s[20:21], s[4:5]
	s_cbranch_execz .LBB5_948
; %bb.947:
	v_mov_b32_e32 v13, s16
	v_mov_b32_e32 v14, s17
	;; [unrolled: 1-line block ×4, first 2 shown]
	global_store_dwordx4 v[6:7], v[13:16], off offset:8
.LBB5_948:
	s_or_b64 exec, exec, s[20:21]
	s_lshl_b64 s[16:17], s[18:19], 12
	v_mov_b32_e32 v3, s17
	v_add_co_u32_e32 v13, vcc, s16, v11
	v_addc_co_u32_e32 v14, vcc, v12, v3, vcc
	s_movk_i32 s15, 0xff1f
	v_and_or_b32 v0, v0, s15, 32
	s_mov_b32 s16, 0
	v_mov_b32_e32 v3, v2
	v_readfirstlane_b32 s20, v13
	v_readfirstlane_b32 s21, v14
	v_add_co_u32_e32 v11, vcc, v13, v50
	s_mov_b32 s17, s16
	s_mov_b32 s18, s16
	s_mov_b32 s19, s16
	s_nop 0
	global_store_dwordx4 v50, v[0:3], s[20:21]
	v_addc_co_u32_e32 v12, vcc, 0, v14, vcc
	v_mov_b32_e32 v0, s16
	v_mov_b32_e32 v1, s17
	;; [unrolled: 1-line block ×4, first 2 shown]
	global_store_dwordx4 v50, v[0:3], s[20:21] offset:16
	global_store_dwordx4 v50, v[0:3], s[20:21] offset:32
	;; [unrolled: 1-line block ×3, first 2 shown]
	s_and_saveexec_b64 s[16:17], s[4:5]
	s_cbranch_execz .LBB5_956
; %bb.949:
	v_mov_b32_e32 v13, 0
	global_load_dwordx2 v[16:17], v13, s[36:37] offset:32 glc
	global_load_dwordx2 v[0:1], v13, s[36:37] offset:40
	v_mov_b32_e32 v14, s10
	v_mov_b32_e32 v15, s11
	s_waitcnt vmcnt(0)
	v_readfirstlane_b32 s18, v0
	v_readfirstlane_b32 s19, v1
	s_and_b64 s[18:19], s[18:19], s[10:11]
	s_mul_i32 s15, s19, 24
	s_mul_hi_u32 s19, s18, 24
	s_mul_i32 s18, s18, 24
	s_add_i32 s15, s19, s15
	v_mov_b32_e32 v0, s15
	v_add_co_u32_e32 v9, vcc, s18, v9
	v_addc_co_u32_e32 v10, vcc, v10, v0, vcc
	global_store_dwordx2 v[9:10], v[16:17], off
	s_waitcnt vmcnt(0)
	global_atomic_cmpswap_x2 v[2:3], v13, v[14:17], s[36:37] offset:32 glc
	s_waitcnt vmcnt(0)
	v_cmp_ne_u64_e32 vcc, v[2:3], v[16:17]
	s_and_saveexec_b64 s[18:19], vcc
	s_cbranch_execz .LBB5_952
; %bb.950:
	s_mov_b64 s[20:21], 0
.LBB5_951:                              ; =>This Inner Loop Header: Depth=1
	s_sleep 1
	global_store_dwordx2 v[9:10], v[2:3], off
	v_mov_b32_e32 v0, s10
	v_mov_b32_e32 v1, s11
	s_waitcnt vmcnt(0)
	global_atomic_cmpswap_x2 v[0:1], v13, v[0:3], s[36:37] offset:32 glc
	s_waitcnt vmcnt(0)
	v_cmp_eq_u64_e32 vcc, v[0:1], v[2:3]
	v_mov_b32_e32 v3, v1
	s_or_b64 s[20:21], vcc, s[20:21]
	v_mov_b32_e32 v2, v0
	s_andn2_b64 exec, exec, s[20:21]
	s_cbranch_execnz .LBB5_951
.LBB5_952:
	s_or_b64 exec, exec, s[18:19]
	v_mov_b32_e32 v3, 0
	global_load_dwordx2 v[0:1], v3, s[36:37] offset:16
	s_mov_b64 s[18:19], exec
	v_mbcnt_lo_u32_b32 v2, s18, 0
	v_mbcnt_hi_u32_b32 v2, s19, v2
	v_cmp_eq_u32_e32 vcc, 0, v2
	s_and_saveexec_b64 s[20:21], vcc
	s_cbranch_execz .LBB5_954
; %bb.953:
	s_bcnt1_i32_b64 s15, s[18:19]
	v_mov_b32_e32 v2, s15
	s_waitcnt vmcnt(0)
	global_atomic_add_x2 v[0:1], v[2:3], off offset:8
.LBB5_954:
	s_or_b64 exec, exec, s[20:21]
	s_waitcnt vmcnt(0)
	global_load_dwordx2 v[2:3], v[0:1], off offset:16
	s_waitcnt vmcnt(0)
	v_cmp_eq_u64_e32 vcc, 0, v[2:3]
	s_cbranch_vccnz .LBB5_956
; %bb.955:
	global_load_dword v0, v[0:1], off offset:24
	v_mov_b32_e32 v1, 0
	s_waitcnt vmcnt(0)
	global_store_dwordx2 v[2:3], v[0:1], off
	v_and_b32_e32 v0, 0xffffff, v0
	v_readfirstlane_b32 m0, v0
	s_sendmsg sendmsg(MSG_INTERRUPT)
.LBB5_956:
	s_or_b64 exec, exec, s[16:17]
	s_branch .LBB5_960
.LBB5_957:                              ;   in Loop: Header=BB5_960 Depth=1
	s_or_b64 exec, exec, s[16:17]
	v_readfirstlane_b32 s15, v0
	s_cmp_eq_u32 s15, 0
	s_cbranch_scc1 .LBB5_959
; %bb.958:                              ;   in Loop: Header=BB5_960 Depth=1
	s_sleep 1
	s_cbranch_execnz .LBB5_960
	s_branch .LBB5_962
.LBB5_959:
	s_branch .LBB5_962
.LBB5_960:                              ; =>This Inner Loop Header: Depth=1
	v_mov_b32_e32 v0, 1
	s_and_saveexec_b64 s[16:17], s[4:5]
	s_cbranch_execz .LBB5_957
; %bb.961:                              ;   in Loop: Header=BB5_960 Depth=1
	global_load_dword v0, v[6:7], off offset:20 glc
	s_waitcnt vmcnt(0)
	buffer_wbinvl1_vol
	v_and_b32_e32 v0, 1, v0
	s_branch .LBB5_957
.LBB5_962:
	global_load_dwordx2 v[9:10], v[11:12], off
	s_and_saveexec_b64 s[16:17], s[4:5]
	s_cbranch_execz .LBB5_965
; %bb.963:
	v_mov_b32_e32 v11, 0
	global_load_dwordx2 v[2:3], v11, s[36:37] offset:40
	global_load_dwordx2 v[12:13], v11, s[36:37] offset:24 glc
	global_load_dwordx2 v[6:7], v11, s[36:37]
	v_mov_b32_e32 v1, s11
	s_mov_b64 s[4:5], 0
	s_waitcnt vmcnt(2)
	v_add_co_u32_e32 v14, vcc, 1, v2
	v_addc_co_u32_e32 v15, vcc, 0, v3, vcc
	v_add_co_u32_e32 v0, vcc, s10, v14
	v_addc_co_u32_e32 v1, vcc, v15, v1, vcc
	v_cmp_eq_u64_e32 vcc, 0, v[0:1]
	v_cndmask_b32_e32 v1, v1, v15, vcc
	v_cndmask_b32_e32 v0, v0, v14, vcc
	v_and_b32_e32 v3, v1, v3
	v_and_b32_e32 v2, v0, v2
	v_mul_lo_u32 v3, v3, 24
	v_mul_hi_u32 v14, v2, 24
	v_mul_lo_u32 v15, v2, 24
	s_waitcnt vmcnt(1)
	v_mov_b32_e32 v2, v12
	v_add_u32_e32 v3, v14, v3
	s_waitcnt vmcnt(0)
	v_add_co_u32_e32 v6, vcc, v6, v15
	v_addc_co_u32_e32 v7, vcc, v7, v3, vcc
	global_store_dwordx2 v[6:7], v[12:13], off
	v_mov_b32_e32 v3, v13
	s_waitcnt vmcnt(0)
	global_atomic_cmpswap_x2 v[2:3], v11, v[0:3], s[36:37] offset:24 glc
	s_waitcnt vmcnt(0)
	v_cmp_ne_u64_e32 vcc, v[2:3], v[12:13]
	s_and_b64 exec, exec, vcc
	s_cbranch_execz .LBB5_965
.LBB5_964:                              ; =>This Inner Loop Header: Depth=1
	s_sleep 1
	global_store_dwordx2 v[6:7], v[2:3], off
	s_waitcnt vmcnt(0)
	global_atomic_cmpswap_x2 v[12:13], v11, v[0:3], s[36:37] offset:24 glc
	s_waitcnt vmcnt(0)
	v_cmp_eq_u64_e32 vcc, v[12:13], v[2:3]
	v_mov_b32_e32 v2, v12
	s_or_b64 s[4:5], vcc, s[4:5]
	v_mov_b32_e32 v3, v13
	s_andn2_b64 exec, exec, s[4:5]
	s_cbranch_execnz .LBB5_964
.LBB5_965:
	s_or_b64 exec, exec, s[16:17]
.LBB5_966:
	v_readfirstlane_b32 s4, v51
	v_mov_b32_e32 v6, 0
	v_mov_b32_e32 v7, 0
	v_cmp_eq_u32_e64 s[4:5], s4, v51
	s_and_saveexec_b64 s[10:11], s[4:5]
	s_cbranch_execz .LBB5_972
; %bb.967:
	s_waitcnt vmcnt(0)
	v_mov_b32_e32 v0, 0
	global_load_dwordx2 v[13:14], v0, s[36:37] offset:24 glc
	s_waitcnt vmcnt(0)
	buffer_wbinvl1_vol
	global_load_dwordx2 v[1:2], v0, s[36:37] offset:40
	global_load_dwordx2 v[6:7], v0, s[36:37]
	s_waitcnt vmcnt(1)
	v_and_b32_e32 v1, v1, v13
	v_and_b32_e32 v2, v2, v14
	v_mul_lo_u32 v2, v2, 24
	v_mul_hi_u32 v3, v1, 24
	v_mul_lo_u32 v1, v1, 24
	v_add_u32_e32 v2, v3, v2
	s_waitcnt vmcnt(0)
	v_add_co_u32_e32 v1, vcc, v6, v1
	v_addc_co_u32_e32 v2, vcc, v7, v2, vcc
	global_load_dwordx2 v[11:12], v[1:2], off glc
	s_waitcnt vmcnt(0)
	global_atomic_cmpswap_x2 v[6:7], v0, v[11:14], s[36:37] offset:24 glc
	s_waitcnt vmcnt(0)
	buffer_wbinvl1_vol
	v_cmp_ne_u64_e32 vcc, v[6:7], v[13:14]
	s_and_saveexec_b64 s[16:17], vcc
	s_cbranch_execz .LBB5_971
; %bb.968:
	s_mov_b64 s[18:19], 0
.LBB5_969:                              ; =>This Inner Loop Header: Depth=1
	s_sleep 1
	global_load_dwordx2 v[1:2], v0, s[36:37] offset:40
	global_load_dwordx2 v[11:12], v0, s[36:37]
	v_mov_b32_e32 v14, v7
	v_mov_b32_e32 v13, v6
	s_waitcnt vmcnt(1)
	v_and_b32_e32 v1, v1, v13
	s_waitcnt vmcnt(0)
	v_mad_u64_u32 v[6:7], s[20:21], v1, 24, v[11:12]
	v_and_b32_e32 v2, v2, v14
	v_mov_b32_e32 v1, v7
	v_mad_u64_u32 v[1:2], s[20:21], v2, 24, v[1:2]
	v_mov_b32_e32 v7, v1
	global_load_dwordx2 v[11:12], v[6:7], off glc
	s_waitcnt vmcnt(0)
	global_atomic_cmpswap_x2 v[6:7], v0, v[11:14], s[36:37] offset:24 glc
	s_waitcnt vmcnt(0)
	buffer_wbinvl1_vol
	v_cmp_eq_u64_e32 vcc, v[6:7], v[13:14]
	s_or_b64 s[18:19], vcc, s[18:19]
	s_andn2_b64 exec, exec, s[18:19]
	s_cbranch_execnz .LBB5_969
; %bb.970:
	s_or_b64 exec, exec, s[18:19]
.LBB5_971:
	s_or_b64 exec, exec, s[16:17]
.LBB5_972:
	s_or_b64 exec, exec, s[10:11]
	v_mov_b32_e32 v13, 0
	global_load_dwordx2 v[11:12], v13, s[36:37] offset:40
	global_load_dwordx4 v[0:3], v13, s[36:37]
	v_readfirstlane_b32 s10, v6
	v_readfirstlane_b32 s11, v7
	s_mov_b64 s[16:17], exec
	s_waitcnt vmcnt(1)
	v_readfirstlane_b32 s18, v11
	v_readfirstlane_b32 s19, v12
	s_and_b64 s[18:19], s[10:11], s[18:19]
	s_mul_i32 s15, s19, 24
	s_mul_hi_u32 s20, s18, 24
	s_mul_i32 s21, s18, 24
	s_add_i32 s15, s20, s15
	v_mov_b32_e32 v7, s15
	s_waitcnt vmcnt(0)
	v_add_co_u32_e32 v6, vcc, s21, v0
	v_addc_co_u32_e32 v7, vcc, v1, v7, vcc
	s_and_saveexec_b64 s[20:21], s[4:5]
	s_cbranch_execz .LBB5_974
; %bb.973:
	v_mov_b32_e32 v11, s16
	v_mov_b32_e32 v12, s17
	;; [unrolled: 1-line block ×4, first 2 shown]
	global_store_dwordx4 v[6:7], v[11:14], off offset:8
.LBB5_974:
	s_or_b64 exec, exec, s[20:21]
	s_lshl_b64 s[16:17], s[18:19], 12
	v_mov_b32_e32 v11, s17
	v_add_co_u32_e32 v2, vcc, s16, v2
	v_addc_co_u32_e32 v3, vcc, v3, v11, vcc
	s_movk_i32 s15, 0xff1d
	v_and_or_b32 v9, v9, s15, 34
	v_ashrrev_i32_e32 v12, 31, v8
	v_mov_b32_e32 v11, v8
	v_readfirstlane_b32 s20, v2
	v_readfirstlane_b32 s21, v3
	s_mov_b32 s16, 0
	s_mov_b32 s17, s16
	;; [unrolled: 1-line block ×4, first 2 shown]
	s_nop 0
	global_store_dwordx4 v50, v[9:12], s[20:21]
	v_mov_b32_e32 v8, s16
	v_mov_b32_e32 v9, s17
	;; [unrolled: 1-line block ×4, first 2 shown]
	global_store_dwordx4 v50, v[8:11], s[20:21] offset:16
	global_store_dwordx4 v50, v[8:11], s[20:21] offset:32
	;; [unrolled: 1-line block ×3, first 2 shown]
	s_and_saveexec_b64 s[16:17], s[4:5]
	s_cbranch_execz .LBB5_982
; %bb.975:
	v_mov_b32_e32 v10, 0
	global_load_dwordx2 v[13:14], v10, s[36:37] offset:32 glc
	global_load_dwordx2 v[2:3], v10, s[36:37] offset:40
	v_mov_b32_e32 v11, s10
	v_mov_b32_e32 v12, s11
	s_waitcnt vmcnt(0)
	v_readfirstlane_b32 s18, v2
	v_readfirstlane_b32 s19, v3
	s_and_b64 s[18:19], s[18:19], s[10:11]
	s_mul_i32 s15, s19, 24
	s_mul_hi_u32 s19, s18, 24
	s_mul_i32 s18, s18, 24
	s_add_i32 s15, s19, s15
	v_mov_b32_e32 v2, s15
	v_add_co_u32_e32 v8, vcc, s18, v0
	v_addc_co_u32_e32 v9, vcc, v1, v2, vcc
	global_store_dwordx2 v[8:9], v[13:14], off
	s_waitcnt vmcnt(0)
	global_atomic_cmpswap_x2 v[2:3], v10, v[11:14], s[36:37] offset:32 glc
	s_waitcnt vmcnt(0)
	v_cmp_ne_u64_e32 vcc, v[2:3], v[13:14]
	s_and_saveexec_b64 s[18:19], vcc
	s_cbranch_execz .LBB5_978
; %bb.976:
	s_mov_b64 s[20:21], 0
.LBB5_977:                              ; =>This Inner Loop Header: Depth=1
	s_sleep 1
	global_store_dwordx2 v[8:9], v[2:3], off
	v_mov_b32_e32 v0, s10
	v_mov_b32_e32 v1, s11
	s_waitcnt vmcnt(0)
	global_atomic_cmpswap_x2 v[0:1], v10, v[0:3], s[36:37] offset:32 glc
	s_waitcnt vmcnt(0)
	v_cmp_eq_u64_e32 vcc, v[0:1], v[2:3]
	v_mov_b32_e32 v3, v1
	s_or_b64 s[20:21], vcc, s[20:21]
	v_mov_b32_e32 v2, v0
	s_andn2_b64 exec, exec, s[20:21]
	s_cbranch_execnz .LBB5_977
.LBB5_978:
	s_or_b64 exec, exec, s[18:19]
	v_mov_b32_e32 v3, 0
	global_load_dwordx2 v[0:1], v3, s[36:37] offset:16
	s_mov_b64 s[18:19], exec
	v_mbcnt_lo_u32_b32 v2, s18, 0
	v_mbcnt_hi_u32_b32 v2, s19, v2
	v_cmp_eq_u32_e32 vcc, 0, v2
	s_and_saveexec_b64 s[20:21], vcc
	s_cbranch_execz .LBB5_980
; %bb.979:
	s_bcnt1_i32_b64 s15, s[18:19]
	v_mov_b32_e32 v2, s15
	s_waitcnt vmcnt(0)
	global_atomic_add_x2 v[0:1], v[2:3], off offset:8
.LBB5_980:
	s_or_b64 exec, exec, s[20:21]
	s_waitcnt vmcnt(0)
	global_load_dwordx2 v[2:3], v[0:1], off offset:16
	s_waitcnt vmcnt(0)
	v_cmp_eq_u64_e32 vcc, 0, v[2:3]
	s_cbranch_vccnz .LBB5_982
; %bb.981:
	global_load_dword v0, v[0:1], off offset:24
	v_mov_b32_e32 v1, 0
	s_waitcnt vmcnt(0)
	global_store_dwordx2 v[2:3], v[0:1], off
	v_and_b32_e32 v0, 0xffffff, v0
	v_readfirstlane_b32 m0, v0
	s_sendmsg sendmsg(MSG_INTERRUPT)
.LBB5_982:
	s_or_b64 exec, exec, s[16:17]
	s_branch .LBB5_986
.LBB5_983:                              ;   in Loop: Header=BB5_986 Depth=1
	s_or_b64 exec, exec, s[16:17]
	v_readfirstlane_b32 s15, v0
	s_cmp_eq_u32 s15, 0
	s_cbranch_scc1 .LBB5_985
; %bb.984:                              ;   in Loop: Header=BB5_986 Depth=1
	s_sleep 1
	s_cbranch_execnz .LBB5_986
	s_branch .LBB5_988
.LBB5_985:
	s_branch .LBB5_988
.LBB5_986:                              ; =>This Inner Loop Header: Depth=1
	v_mov_b32_e32 v0, 1
	s_and_saveexec_b64 s[16:17], s[4:5]
	s_cbranch_execz .LBB5_983
; %bb.987:                              ;   in Loop: Header=BB5_986 Depth=1
	global_load_dword v0, v[6:7], off offset:20 glc
	s_waitcnt vmcnt(0)
	buffer_wbinvl1_vol
	v_and_b32_e32 v0, 1, v0
	s_branch .LBB5_983
.LBB5_988:
	s_and_saveexec_b64 s[16:17], s[4:5]
	s_cbranch_execz .LBB5_991
; %bb.989:
	v_mov_b32_e32 v8, 0
	global_load_dwordx2 v[2:3], v8, s[36:37] offset:40
	global_load_dwordx2 v[9:10], v8, s[36:37] offset:24 glc
	global_load_dwordx2 v[6:7], v8, s[36:37]
	v_mov_b32_e32 v1, s11
	s_mov_b64 s[4:5], 0
	s_waitcnt vmcnt(2)
	v_add_co_u32_e32 v11, vcc, 1, v2
	v_addc_co_u32_e32 v12, vcc, 0, v3, vcc
	v_add_co_u32_e32 v0, vcc, s10, v11
	v_addc_co_u32_e32 v1, vcc, v12, v1, vcc
	v_cmp_eq_u64_e32 vcc, 0, v[0:1]
	v_cndmask_b32_e32 v1, v1, v12, vcc
	v_cndmask_b32_e32 v0, v0, v11, vcc
	v_and_b32_e32 v3, v1, v3
	v_and_b32_e32 v2, v0, v2
	v_mul_lo_u32 v3, v3, 24
	v_mul_hi_u32 v11, v2, 24
	v_mul_lo_u32 v12, v2, 24
	s_waitcnt vmcnt(1)
	v_mov_b32_e32 v2, v9
	v_add_u32_e32 v3, v11, v3
	s_waitcnt vmcnt(0)
	v_add_co_u32_e32 v6, vcc, v6, v12
	v_addc_co_u32_e32 v7, vcc, v7, v3, vcc
	global_store_dwordx2 v[6:7], v[9:10], off
	v_mov_b32_e32 v3, v10
	s_waitcnt vmcnt(0)
	global_atomic_cmpswap_x2 v[2:3], v8, v[0:3], s[36:37] offset:24 glc
	s_waitcnt vmcnt(0)
	v_cmp_ne_u64_e32 vcc, v[2:3], v[9:10]
	s_and_b64 exec, exec, vcc
	s_cbranch_execz .LBB5_991
.LBB5_990:                              ; =>This Inner Loop Header: Depth=1
	s_sleep 1
	global_store_dwordx2 v[6:7], v[2:3], off
	s_waitcnt vmcnt(0)
	global_atomic_cmpswap_x2 v[9:10], v8, v[0:3], s[36:37] offset:24 glc
	s_waitcnt vmcnt(0)
	v_cmp_eq_u64_e32 vcc, v[9:10], v[2:3]
	v_mov_b32_e32 v2, v9
	s_or_b64 s[4:5], vcc, s[4:5]
	v_mov_b32_e32 v3, v10
	s_andn2_b64 exec, exec, s[4:5]
	s_cbranch_execnz .LBB5_990
.LBB5_991:
	s_or_b64 exec, exec, s[16:17]
	v_readfirstlane_b32 s4, v51
	v_mov_b32_e32 v8, 0
	v_mov_b32_e32 v9, 0
	v_cmp_eq_u32_e64 s[4:5], s4, v51
	s_and_saveexec_b64 s[10:11], s[4:5]
	s_cbranch_execz .LBB5_997
; %bb.992:
	v_mov_b32_e32 v0, 0
	global_load_dwordx2 v[10:11], v0, s[36:37] offset:24 glc
	s_waitcnt vmcnt(0)
	buffer_wbinvl1_vol
	global_load_dwordx2 v[1:2], v0, s[36:37] offset:40
	global_load_dwordx2 v[6:7], v0, s[36:37]
	s_waitcnt vmcnt(1)
	v_and_b32_e32 v1, v1, v10
	v_and_b32_e32 v2, v2, v11
	v_mul_lo_u32 v2, v2, 24
	v_mul_hi_u32 v3, v1, 24
	v_mul_lo_u32 v1, v1, 24
	v_add_u32_e32 v2, v3, v2
	s_waitcnt vmcnt(0)
	v_add_co_u32_e32 v1, vcc, v6, v1
	v_addc_co_u32_e32 v2, vcc, v7, v2, vcc
	global_load_dwordx2 v[8:9], v[1:2], off glc
	s_waitcnt vmcnt(0)
	global_atomic_cmpswap_x2 v[8:9], v0, v[8:11], s[36:37] offset:24 glc
	s_waitcnt vmcnt(0)
	buffer_wbinvl1_vol
	v_cmp_ne_u64_e32 vcc, v[8:9], v[10:11]
	s_and_saveexec_b64 s[16:17], vcc
	s_cbranch_execz .LBB5_996
; %bb.993:
	s_mov_b64 s[18:19], 0
.LBB5_994:                              ; =>This Inner Loop Header: Depth=1
	s_sleep 1
	global_load_dwordx2 v[1:2], v0, s[36:37] offset:40
	global_load_dwordx2 v[6:7], v0, s[36:37]
	v_mov_b32_e32 v11, v9
	v_mov_b32_e32 v10, v8
	s_waitcnt vmcnt(1)
	v_and_b32_e32 v1, v1, v10
	s_waitcnt vmcnt(0)
	v_mad_u64_u32 v[6:7], s[20:21], v1, 24, v[6:7]
	v_and_b32_e32 v2, v2, v11
	v_mov_b32_e32 v1, v7
	v_mad_u64_u32 v[1:2], s[20:21], v2, 24, v[1:2]
	v_mov_b32_e32 v7, v1
	global_load_dwordx2 v[8:9], v[6:7], off glc
	s_waitcnt vmcnt(0)
	global_atomic_cmpswap_x2 v[8:9], v0, v[8:11], s[36:37] offset:24 glc
	s_waitcnt vmcnt(0)
	buffer_wbinvl1_vol
	v_cmp_eq_u64_e32 vcc, v[8:9], v[10:11]
	s_or_b64 s[18:19], vcc, s[18:19]
	s_andn2_b64 exec, exec, s[18:19]
	s_cbranch_execnz .LBB5_994
; %bb.995:
	s_or_b64 exec, exec, s[18:19]
.LBB5_996:
	s_or_b64 exec, exec, s[16:17]
.LBB5_997:
	s_or_b64 exec, exec, s[10:11]
	v_mov_b32_e32 v7, 0
	global_load_dwordx2 v[10:11], v7, s[36:37] offset:40
	global_load_dwordx4 v[0:3], v7, s[36:37]
	v_readfirstlane_b32 s10, v8
	v_readfirstlane_b32 s11, v9
	s_mov_b64 s[16:17], exec
	s_waitcnt vmcnt(1)
	v_readfirstlane_b32 s18, v10
	v_readfirstlane_b32 s19, v11
	s_and_b64 s[18:19], s[10:11], s[18:19]
	s_mul_i32 s15, s19, 24
	s_mul_hi_u32 s20, s18, 24
	s_mul_i32 s21, s18, 24
	s_add_i32 s15, s20, s15
	v_mov_b32_e32 v6, s15
	s_waitcnt vmcnt(0)
	v_add_co_u32_e32 v10, vcc, s21, v0
	v_addc_co_u32_e32 v11, vcc, v1, v6, vcc
	s_and_saveexec_b64 s[20:21], s[4:5]
	s_cbranch_execz .LBB5_999
; %bb.998:
	v_mov_b32_e32 v12, s16
	v_mov_b32_e32 v13, s17
	;; [unrolled: 1-line block ×4, first 2 shown]
	global_store_dwordx4 v[10:11], v[12:15], off offset:8
.LBB5_999:
	s_or_b64 exec, exec, s[20:21]
	s_lshl_b64 s[16:17], s[18:19], 12
	v_mov_b32_e32 v6, s17
	v_add_co_u32_e32 v2, vcc, s16, v2
	v_addc_co_u32_e32 v3, vcc, v3, v6, vcc
	s_mov_b32 s16, 0
	v_mov_b32_e32 v6, 33
	v_mov_b32_e32 v8, v7
	;; [unrolled: 1-line block ×3, first 2 shown]
	v_readfirstlane_b32 s20, v2
	v_readfirstlane_b32 s21, v3
	v_add_co_u32_e32 v12, vcc, v2, v50
	s_mov_b32 s17, s16
	s_mov_b32 s18, s16
	;; [unrolled: 1-line block ×3, first 2 shown]
	s_nop 0
	global_store_dwordx4 v50, v[6:9], s[20:21]
	v_addc_co_u32_e32 v13, vcc, 0, v3, vcc
	v_mov_b32_e32 v6, s16
	v_mov_b32_e32 v7, s17
	;; [unrolled: 1-line block ×4, first 2 shown]
	global_store_dwordx4 v50, v[6:9], s[20:21] offset:16
	global_store_dwordx4 v50, v[6:9], s[20:21] offset:32
	;; [unrolled: 1-line block ×3, first 2 shown]
	s_and_saveexec_b64 s[16:17], s[4:5]
	s_cbranch_execz .LBB5_1007
; %bb.1000:
	v_mov_b32_e32 v8, 0
	global_load_dwordx2 v[16:17], v8, s[36:37] offset:32 glc
	global_load_dwordx2 v[2:3], v8, s[36:37] offset:40
	v_mov_b32_e32 v14, s10
	v_mov_b32_e32 v15, s11
	s_waitcnt vmcnt(0)
	v_readfirstlane_b32 s18, v2
	v_readfirstlane_b32 s19, v3
	s_and_b64 s[18:19], s[18:19], s[10:11]
	s_mul_i32 s15, s19, 24
	s_mul_hi_u32 s19, s18, 24
	s_mul_i32 s18, s18, 24
	s_add_i32 s15, s19, s15
	v_mov_b32_e32 v2, s15
	v_add_co_u32_e32 v6, vcc, s18, v0
	v_addc_co_u32_e32 v7, vcc, v1, v2, vcc
	global_store_dwordx2 v[6:7], v[16:17], off
	s_waitcnt vmcnt(0)
	global_atomic_cmpswap_x2 v[2:3], v8, v[14:17], s[36:37] offset:32 glc
	s_waitcnt vmcnt(0)
	v_cmp_ne_u64_e32 vcc, v[2:3], v[16:17]
	s_and_saveexec_b64 s[18:19], vcc
	s_cbranch_execz .LBB5_1003
; %bb.1001:
	s_mov_b64 s[20:21], 0
.LBB5_1002:                             ; =>This Inner Loop Header: Depth=1
	s_sleep 1
	global_store_dwordx2 v[6:7], v[2:3], off
	v_mov_b32_e32 v0, s10
	v_mov_b32_e32 v1, s11
	s_waitcnt vmcnt(0)
	global_atomic_cmpswap_x2 v[0:1], v8, v[0:3], s[36:37] offset:32 glc
	s_waitcnt vmcnt(0)
	v_cmp_eq_u64_e32 vcc, v[0:1], v[2:3]
	v_mov_b32_e32 v3, v1
	s_or_b64 s[20:21], vcc, s[20:21]
	v_mov_b32_e32 v2, v0
	s_andn2_b64 exec, exec, s[20:21]
	s_cbranch_execnz .LBB5_1002
.LBB5_1003:
	s_or_b64 exec, exec, s[18:19]
	v_mov_b32_e32 v3, 0
	global_load_dwordx2 v[0:1], v3, s[36:37] offset:16
	s_mov_b64 s[18:19], exec
	v_mbcnt_lo_u32_b32 v2, s18, 0
	v_mbcnt_hi_u32_b32 v2, s19, v2
	v_cmp_eq_u32_e32 vcc, 0, v2
	s_and_saveexec_b64 s[20:21], vcc
	s_cbranch_execz .LBB5_1005
; %bb.1004:
	s_bcnt1_i32_b64 s15, s[18:19]
	v_mov_b32_e32 v2, s15
	s_waitcnt vmcnt(0)
	global_atomic_add_x2 v[0:1], v[2:3], off offset:8
.LBB5_1005:
	s_or_b64 exec, exec, s[20:21]
	s_waitcnt vmcnt(0)
	global_load_dwordx2 v[2:3], v[0:1], off offset:16
	s_waitcnt vmcnt(0)
	v_cmp_eq_u64_e32 vcc, 0, v[2:3]
	s_cbranch_vccnz .LBB5_1007
; %bb.1006:
	global_load_dword v0, v[0:1], off offset:24
	v_mov_b32_e32 v1, 0
	s_waitcnt vmcnt(0)
	global_store_dwordx2 v[2:3], v[0:1], off
	v_and_b32_e32 v0, 0xffffff, v0
	v_readfirstlane_b32 m0, v0
	s_sendmsg sendmsg(MSG_INTERRUPT)
.LBB5_1007:
	s_or_b64 exec, exec, s[16:17]
	s_branch .LBB5_1011
.LBB5_1008:                             ;   in Loop: Header=BB5_1011 Depth=1
	s_or_b64 exec, exec, s[16:17]
	v_readfirstlane_b32 s15, v0
	s_cmp_eq_u32 s15, 0
	s_cbranch_scc1 .LBB5_1010
; %bb.1009:                             ;   in Loop: Header=BB5_1011 Depth=1
	s_sleep 1
	s_cbranch_execnz .LBB5_1011
	s_branch .LBB5_1013
.LBB5_1010:
	s_branch .LBB5_1013
.LBB5_1011:                             ; =>This Inner Loop Header: Depth=1
	v_mov_b32_e32 v0, 1
	s_and_saveexec_b64 s[16:17], s[4:5]
	s_cbranch_execz .LBB5_1008
; %bb.1012:                             ;   in Loop: Header=BB5_1011 Depth=1
	global_load_dword v0, v[10:11], off offset:20 glc
	s_waitcnt vmcnt(0)
	buffer_wbinvl1_vol
	v_and_b32_e32 v0, 1, v0
	s_branch .LBB5_1008
.LBB5_1013:
	global_load_dwordx2 v[0:1], v[12:13], off
	s_and_saveexec_b64 s[16:17], s[4:5]
	s_cbranch_execz .LBB5_1016
; %bb.1014:
	v_mov_b32_e32 v10, 0
	global_load_dwordx2 v[2:3], v10, s[36:37] offset:40
	global_load_dwordx2 v[11:12], v10, s[36:37] offset:24 glc
	global_load_dwordx2 v[13:14], v10, s[36:37]
	v_mov_b32_e32 v7, s11
	s_mov_b64 s[4:5], 0
	s_waitcnt vmcnt(2)
	v_add_co_u32_e32 v8, vcc, 1, v2
	v_addc_co_u32_e32 v9, vcc, 0, v3, vcc
	v_add_co_u32_e32 v6, vcc, s10, v8
	v_addc_co_u32_e32 v7, vcc, v9, v7, vcc
	v_cmp_eq_u64_e32 vcc, 0, v[6:7]
	v_cndmask_b32_e32 v7, v7, v9, vcc
	v_cndmask_b32_e32 v6, v6, v8, vcc
	v_and_b32_e32 v3, v7, v3
	v_and_b32_e32 v2, v6, v2
	v_mul_lo_u32 v3, v3, 24
	v_mul_hi_u32 v9, v2, 24
	v_mul_lo_u32 v2, v2, 24
	s_waitcnt vmcnt(1)
	v_mov_b32_e32 v8, v11
	v_add_u32_e32 v3, v9, v3
	s_waitcnt vmcnt(0)
	v_add_co_u32_e32 v2, vcc, v13, v2
	v_addc_co_u32_e32 v3, vcc, v14, v3, vcc
	global_store_dwordx2 v[2:3], v[11:12], off
	v_mov_b32_e32 v9, v12
	s_waitcnt vmcnt(0)
	global_atomic_cmpswap_x2 v[8:9], v10, v[6:9], s[36:37] offset:24 glc
	s_waitcnt vmcnt(0)
	v_cmp_ne_u64_e32 vcc, v[8:9], v[11:12]
	s_and_b64 exec, exec, vcc
	s_cbranch_execz .LBB5_1016
.LBB5_1015:                             ; =>This Inner Loop Header: Depth=1
	s_sleep 1
	global_store_dwordx2 v[2:3], v[8:9], off
	s_waitcnt vmcnt(0)
	global_atomic_cmpswap_x2 v[11:12], v10, v[6:9], s[36:37] offset:24 glc
	s_waitcnt vmcnt(0)
	v_cmp_eq_u64_e32 vcc, v[11:12], v[8:9]
	v_mov_b32_e32 v8, v11
	s_or_b64 s[4:5], vcc, s[4:5]
	v_mov_b32_e32 v9, v12
	s_andn2_b64 exec, exec, s[4:5]
	s_cbranch_execnz .LBB5_1015
.LBB5_1016:
	s_or_b64 exec, exec, s[16:17]
	s_and_b64 vcc, exec, s[38:39]
	s_cbranch_vccz .LBB5_1101
; %bb.1017:
	s_waitcnt vmcnt(0)
	v_and_b32_e32 v34, 2, v0
	v_mov_b32_e32 v3, 0
	v_and_b32_e32 v6, -3, v0
	v_mov_b32_e32 v7, v1
	s_mov_b64 s[16:17], 3
	v_mov_b32_e32 v10, 2
	v_mov_b32_e32 v11, 1
	s_getpc_b64 s[10:11]
	s_add_u32 s10, s10, .str.6@rel32@lo+4
	s_addc_u32 s11, s11, .str.6@rel32@hi+12
	s_branch .LBB5_1019
.LBB5_1018:                             ;   in Loop: Header=BB5_1019 Depth=1
	s_or_b64 exec, exec, s[22:23]
	s_sub_u32 s16, s16, s18
	s_subb_u32 s17, s17, s19
	s_add_u32 s10, s10, s18
	s_addc_u32 s11, s11, s19
	s_cmp_lg_u64 s[16:17], 0
	s_cbranch_scc0 .LBB5_1100
.LBB5_1019:                             ; =>This Loop Header: Depth=1
                                        ;     Child Loop BB5_1022 Depth 2
                                        ;     Child Loop BB5_1029 Depth 2
	;; [unrolled: 1-line block ×11, first 2 shown]
	v_cmp_lt_u64_e64 s[4:5], s[16:17], 56
	v_cmp_gt_u64_e64 s[20:21], s[16:17], 7
	s_and_b64 s[4:5], s[4:5], exec
	s_cselect_b32 s19, s17, 0
	s_cselect_b32 s18, s16, 56
	s_and_b64 vcc, exec, s[20:21]
	s_cbranch_vccnz .LBB5_1024
; %bb.1020:                             ;   in Loop: Header=BB5_1019 Depth=1
	v_mov_b32_e32 v14, 0
	s_cmp_eq_u64 s[16:17], 0
	v_mov_b32_e32 v15, 0
	s_mov_b64 s[4:5], 0
	s_cbranch_scc1 .LBB5_1023
; %bb.1021:                             ;   in Loop: Header=BB5_1019 Depth=1
	v_mov_b32_e32 v14, 0
	s_lshl_b64 s[20:21], s[18:19], 3
	s_mov_b64 s[22:23], 0
	v_mov_b32_e32 v15, 0
	s_mov_b64 s[24:25], s[10:11]
.LBB5_1022:                             ;   Parent Loop BB5_1019 Depth=1
                                        ; =>  This Inner Loop Header: Depth=2
	global_load_ubyte v2, v3, s[24:25]
	s_waitcnt vmcnt(0)
	v_and_b32_e32 v2, 0xffff, v2
	v_lshlrev_b64 v[8:9], s22, v[2:3]
	s_add_u32 s22, s22, 8
	s_addc_u32 s23, s23, 0
	s_add_u32 s24, s24, 1
	s_addc_u32 s25, s25, 0
	v_or_b32_e32 v14, v8, v14
	s_cmp_lg_u32 s20, s22
	v_or_b32_e32 v15, v9, v15
	s_cbranch_scc1 .LBB5_1022
.LBB5_1023:                             ;   in Loop: Header=BB5_1019 Depth=1
	s_mov_b32 s15, 0
	s_andn2_b64 vcc, exec, s[4:5]
	s_mov_b64 s[4:5], s[10:11]
	s_cbranch_vccz .LBB5_1025
	s_branch .LBB5_1026
.LBB5_1024:                             ;   in Loop: Header=BB5_1019 Depth=1
                                        ; implicit-def: $vgpr14_vgpr15
                                        ; implicit-def: $sgpr15
	s_mov_b64 s[4:5], s[10:11]
.LBB5_1025:                             ;   in Loop: Header=BB5_1019 Depth=1
	global_load_dwordx2 v[14:15], v3, s[10:11]
	s_add_i32 s15, s18, -8
	s_add_u32 s4, s10, 8
	s_addc_u32 s5, s11, 0
.LBB5_1026:                             ;   in Loop: Header=BB5_1019 Depth=1
	s_cmp_gt_u32 s15, 7
	s_cbranch_scc1 .LBB5_1030
; %bb.1027:                             ;   in Loop: Header=BB5_1019 Depth=1
	s_cmp_eq_u32 s15, 0
	s_cbranch_scc1 .LBB5_1031
; %bb.1028:                             ;   in Loop: Header=BB5_1019 Depth=1
	v_mov_b32_e32 v16, 0
	s_mov_b64 s[20:21], 0
	v_mov_b32_e32 v17, 0
	s_mov_b64 s[22:23], 0
.LBB5_1029:                             ;   Parent Loop BB5_1019 Depth=1
                                        ; =>  This Inner Loop Header: Depth=2
	s_add_u32 s24, s4, s22
	s_addc_u32 s25, s5, s23
	global_load_ubyte v2, v3, s[24:25]
	s_add_u32 s22, s22, 1
	s_addc_u32 s23, s23, 0
	s_waitcnt vmcnt(0)
	v_and_b32_e32 v2, 0xffff, v2
	v_lshlrev_b64 v[8:9], s20, v[2:3]
	s_add_u32 s20, s20, 8
	s_addc_u32 s21, s21, 0
	v_or_b32_e32 v16, v8, v16
	s_cmp_lg_u32 s15, s22
	v_or_b32_e32 v17, v9, v17
	s_cbranch_scc1 .LBB5_1029
	s_branch .LBB5_1032
.LBB5_1030:                             ;   in Loop: Header=BB5_1019 Depth=1
                                        ; implicit-def: $vgpr16_vgpr17
                                        ; implicit-def: $sgpr24
	s_branch .LBB5_1033
.LBB5_1031:                             ;   in Loop: Header=BB5_1019 Depth=1
	v_mov_b32_e32 v16, 0
	v_mov_b32_e32 v17, 0
.LBB5_1032:                             ;   in Loop: Header=BB5_1019 Depth=1
	s_mov_b32 s24, 0
	s_cbranch_execnz .LBB5_1034
.LBB5_1033:                             ;   in Loop: Header=BB5_1019 Depth=1
	global_load_dwordx2 v[16:17], v3, s[4:5]
	s_add_i32 s24, s15, -8
	s_add_u32 s4, s4, 8
	s_addc_u32 s5, s5, 0
.LBB5_1034:                             ;   in Loop: Header=BB5_1019 Depth=1
	s_cmp_gt_u32 s24, 7
	s_cbranch_scc1 .LBB5_1038
; %bb.1035:                             ;   in Loop: Header=BB5_1019 Depth=1
	s_cmp_eq_u32 s24, 0
	s_cbranch_scc1 .LBB5_1039
; %bb.1036:                             ;   in Loop: Header=BB5_1019 Depth=1
	v_mov_b32_e32 v18, 0
	s_mov_b64 s[20:21], 0
	v_mov_b32_e32 v19, 0
	s_mov_b64 s[22:23], 0
.LBB5_1037:                             ;   Parent Loop BB5_1019 Depth=1
                                        ; =>  This Inner Loop Header: Depth=2
	s_add_u32 s26, s4, s22
	s_addc_u32 s27, s5, s23
	global_load_ubyte v2, v3, s[26:27]
	s_add_u32 s22, s22, 1
	s_addc_u32 s23, s23, 0
	s_waitcnt vmcnt(0)
	v_and_b32_e32 v2, 0xffff, v2
	v_lshlrev_b64 v[8:9], s20, v[2:3]
	s_add_u32 s20, s20, 8
	s_addc_u32 s21, s21, 0
	v_or_b32_e32 v18, v8, v18
	s_cmp_lg_u32 s24, s22
	v_or_b32_e32 v19, v9, v19
	s_cbranch_scc1 .LBB5_1037
	s_branch .LBB5_1040
.LBB5_1038:                             ;   in Loop: Header=BB5_1019 Depth=1
                                        ; implicit-def: $sgpr15
	s_branch .LBB5_1041
.LBB5_1039:                             ;   in Loop: Header=BB5_1019 Depth=1
	v_mov_b32_e32 v18, 0
	v_mov_b32_e32 v19, 0
.LBB5_1040:                             ;   in Loop: Header=BB5_1019 Depth=1
	s_mov_b32 s15, 0
	s_cbranch_execnz .LBB5_1042
.LBB5_1041:                             ;   in Loop: Header=BB5_1019 Depth=1
	global_load_dwordx2 v[18:19], v3, s[4:5]
	s_add_i32 s15, s24, -8
	s_add_u32 s4, s4, 8
	s_addc_u32 s5, s5, 0
.LBB5_1042:                             ;   in Loop: Header=BB5_1019 Depth=1
	s_cmp_gt_u32 s15, 7
	s_cbranch_scc1 .LBB5_1046
; %bb.1043:                             ;   in Loop: Header=BB5_1019 Depth=1
	s_cmp_eq_u32 s15, 0
	s_cbranch_scc1 .LBB5_1047
; %bb.1044:                             ;   in Loop: Header=BB5_1019 Depth=1
	v_mov_b32_e32 v20, 0
	s_mov_b64 s[20:21], 0
	v_mov_b32_e32 v21, 0
	s_mov_b64 s[22:23], 0
.LBB5_1045:                             ;   Parent Loop BB5_1019 Depth=1
                                        ; =>  This Inner Loop Header: Depth=2
	s_add_u32 s24, s4, s22
	s_addc_u32 s25, s5, s23
	global_load_ubyte v2, v3, s[24:25]
	s_add_u32 s22, s22, 1
	s_addc_u32 s23, s23, 0
	s_waitcnt vmcnt(0)
	v_and_b32_e32 v2, 0xffff, v2
	v_lshlrev_b64 v[8:9], s20, v[2:3]
	s_add_u32 s20, s20, 8
	s_addc_u32 s21, s21, 0
	v_or_b32_e32 v20, v8, v20
	s_cmp_lg_u32 s15, s22
	v_or_b32_e32 v21, v9, v21
	s_cbranch_scc1 .LBB5_1045
	s_branch .LBB5_1048
.LBB5_1046:                             ;   in Loop: Header=BB5_1019 Depth=1
                                        ; implicit-def: $vgpr20_vgpr21
                                        ; implicit-def: $sgpr24
	s_branch .LBB5_1049
.LBB5_1047:                             ;   in Loop: Header=BB5_1019 Depth=1
	v_mov_b32_e32 v20, 0
	v_mov_b32_e32 v21, 0
.LBB5_1048:                             ;   in Loop: Header=BB5_1019 Depth=1
	s_mov_b32 s24, 0
	s_cbranch_execnz .LBB5_1050
.LBB5_1049:                             ;   in Loop: Header=BB5_1019 Depth=1
	global_load_dwordx2 v[20:21], v3, s[4:5]
	s_add_i32 s24, s15, -8
	s_add_u32 s4, s4, 8
	s_addc_u32 s5, s5, 0
.LBB5_1050:                             ;   in Loop: Header=BB5_1019 Depth=1
	s_cmp_gt_u32 s24, 7
	s_cbranch_scc1 .LBB5_1054
; %bb.1051:                             ;   in Loop: Header=BB5_1019 Depth=1
	s_cmp_eq_u32 s24, 0
	s_cbranch_scc1 .LBB5_1055
; %bb.1052:                             ;   in Loop: Header=BB5_1019 Depth=1
	v_mov_b32_e32 v22, 0
	s_mov_b64 s[20:21], 0
	v_mov_b32_e32 v23, 0
	s_mov_b64 s[22:23], 0
.LBB5_1053:                             ;   Parent Loop BB5_1019 Depth=1
                                        ; =>  This Inner Loop Header: Depth=2
	s_add_u32 s26, s4, s22
	s_addc_u32 s27, s5, s23
	global_load_ubyte v2, v3, s[26:27]
	s_add_u32 s22, s22, 1
	s_addc_u32 s23, s23, 0
	s_waitcnt vmcnt(0)
	v_and_b32_e32 v2, 0xffff, v2
	v_lshlrev_b64 v[8:9], s20, v[2:3]
	s_add_u32 s20, s20, 8
	s_addc_u32 s21, s21, 0
	v_or_b32_e32 v22, v8, v22
	s_cmp_lg_u32 s24, s22
	v_or_b32_e32 v23, v9, v23
	s_cbranch_scc1 .LBB5_1053
	s_branch .LBB5_1056
.LBB5_1054:                             ;   in Loop: Header=BB5_1019 Depth=1
                                        ; implicit-def: $sgpr15
	s_branch .LBB5_1057
.LBB5_1055:                             ;   in Loop: Header=BB5_1019 Depth=1
	v_mov_b32_e32 v22, 0
	v_mov_b32_e32 v23, 0
.LBB5_1056:                             ;   in Loop: Header=BB5_1019 Depth=1
	s_mov_b32 s15, 0
	s_cbranch_execnz .LBB5_1058
.LBB5_1057:                             ;   in Loop: Header=BB5_1019 Depth=1
	global_load_dwordx2 v[22:23], v3, s[4:5]
	s_add_i32 s15, s24, -8
	s_add_u32 s4, s4, 8
	s_addc_u32 s5, s5, 0
.LBB5_1058:                             ;   in Loop: Header=BB5_1019 Depth=1
	s_cmp_gt_u32 s15, 7
	s_cbranch_scc1 .LBB5_1062
; %bb.1059:                             ;   in Loop: Header=BB5_1019 Depth=1
	s_cmp_eq_u32 s15, 0
	s_cbranch_scc1 .LBB5_1063
; %bb.1060:                             ;   in Loop: Header=BB5_1019 Depth=1
	v_mov_b32_e32 v24, 0
	s_mov_b64 s[20:21], 0
	v_mov_b32_e32 v25, 0
	s_mov_b64 s[22:23], 0
.LBB5_1061:                             ;   Parent Loop BB5_1019 Depth=1
                                        ; =>  This Inner Loop Header: Depth=2
	s_add_u32 s24, s4, s22
	s_addc_u32 s25, s5, s23
	global_load_ubyte v2, v3, s[24:25]
	s_add_u32 s22, s22, 1
	s_addc_u32 s23, s23, 0
	s_waitcnt vmcnt(0)
	v_and_b32_e32 v2, 0xffff, v2
	v_lshlrev_b64 v[8:9], s20, v[2:3]
	s_add_u32 s20, s20, 8
	s_addc_u32 s21, s21, 0
	v_or_b32_e32 v24, v8, v24
	s_cmp_lg_u32 s15, s22
	v_or_b32_e32 v25, v9, v25
	s_cbranch_scc1 .LBB5_1061
	s_branch .LBB5_1064
.LBB5_1062:                             ;   in Loop: Header=BB5_1019 Depth=1
                                        ; implicit-def: $vgpr24_vgpr25
                                        ; implicit-def: $sgpr24
	s_branch .LBB5_1065
.LBB5_1063:                             ;   in Loop: Header=BB5_1019 Depth=1
	v_mov_b32_e32 v24, 0
	v_mov_b32_e32 v25, 0
.LBB5_1064:                             ;   in Loop: Header=BB5_1019 Depth=1
	s_mov_b32 s24, 0
	s_cbranch_execnz .LBB5_1066
.LBB5_1065:                             ;   in Loop: Header=BB5_1019 Depth=1
	global_load_dwordx2 v[24:25], v3, s[4:5]
	s_add_i32 s24, s15, -8
	s_add_u32 s4, s4, 8
	s_addc_u32 s5, s5, 0
.LBB5_1066:                             ;   in Loop: Header=BB5_1019 Depth=1
	s_cmp_gt_u32 s24, 7
	s_cbranch_scc1 .LBB5_1070
; %bb.1067:                             ;   in Loop: Header=BB5_1019 Depth=1
	s_cmp_eq_u32 s24, 0
	s_cbranch_scc1 .LBB5_1071
; %bb.1068:                             ;   in Loop: Header=BB5_1019 Depth=1
	v_mov_b32_e32 v26, 0
	s_mov_b64 s[20:21], 0
	v_mov_b32_e32 v27, 0
	s_mov_b64 s[22:23], s[4:5]
.LBB5_1069:                             ;   Parent Loop BB5_1019 Depth=1
                                        ; =>  This Inner Loop Header: Depth=2
	global_load_ubyte v2, v3, s[22:23]
	s_add_i32 s24, s24, -1
	s_waitcnt vmcnt(0)
	v_and_b32_e32 v2, 0xffff, v2
	v_lshlrev_b64 v[8:9], s20, v[2:3]
	s_add_u32 s20, s20, 8
	s_addc_u32 s21, s21, 0
	s_add_u32 s22, s22, 1
	s_addc_u32 s23, s23, 0
	v_or_b32_e32 v26, v8, v26
	s_cmp_lg_u32 s24, 0
	v_or_b32_e32 v27, v9, v27
	s_cbranch_scc1 .LBB5_1069
	s_branch .LBB5_1072
.LBB5_1070:                             ;   in Loop: Header=BB5_1019 Depth=1
	s_branch .LBB5_1073
.LBB5_1071:                             ;   in Loop: Header=BB5_1019 Depth=1
	v_mov_b32_e32 v26, 0
	v_mov_b32_e32 v27, 0
.LBB5_1072:                             ;   in Loop: Header=BB5_1019 Depth=1
	s_cbranch_execnz .LBB5_1074
.LBB5_1073:                             ;   in Loop: Header=BB5_1019 Depth=1
	global_load_dwordx2 v[26:27], v3, s[4:5]
.LBB5_1074:                             ;   in Loop: Header=BB5_1019 Depth=1
	v_readfirstlane_b32 s4, v51
	s_waitcnt vmcnt(0)
	v_mov_b32_e32 v8, 0
	v_mov_b32_e32 v9, 0
	v_cmp_eq_u32_e64 s[4:5], s4, v51
	s_and_saveexec_b64 s[20:21], s[4:5]
	s_cbranch_execz .LBB5_1080
; %bb.1075:                             ;   in Loop: Header=BB5_1019 Depth=1
	global_load_dwordx2 v[30:31], v3, s[36:37] offset:24 glc
	s_waitcnt vmcnt(0)
	buffer_wbinvl1_vol
	global_load_dwordx2 v[8:9], v3, s[36:37] offset:40
	global_load_dwordx2 v[12:13], v3, s[36:37]
	s_waitcnt vmcnt(1)
	v_and_b32_e32 v2, v8, v30
	v_and_b32_e32 v8, v9, v31
	v_mul_lo_u32 v8, v8, 24
	v_mul_hi_u32 v9, v2, 24
	v_mul_lo_u32 v2, v2, 24
	v_add_u32_e32 v9, v9, v8
	s_waitcnt vmcnt(0)
	v_add_co_u32_e32 v8, vcc, v12, v2
	v_addc_co_u32_e32 v9, vcc, v13, v9, vcc
	global_load_dwordx2 v[28:29], v[8:9], off glc
	s_waitcnt vmcnt(0)
	global_atomic_cmpswap_x2 v[8:9], v3, v[28:31], s[36:37] offset:24 glc
	s_waitcnt vmcnt(0)
	buffer_wbinvl1_vol
	v_cmp_ne_u64_e32 vcc, v[8:9], v[30:31]
	s_and_saveexec_b64 s[22:23], vcc
	s_cbranch_execz .LBB5_1079
; %bb.1076:                             ;   in Loop: Header=BB5_1019 Depth=1
	s_mov_b64 s[24:25], 0
.LBB5_1077:                             ;   Parent Loop BB5_1019 Depth=1
                                        ; =>  This Inner Loop Header: Depth=2
	s_sleep 1
	global_load_dwordx2 v[12:13], v3, s[36:37] offset:40
	global_load_dwordx2 v[28:29], v3, s[36:37]
	v_mov_b32_e32 v31, v9
	v_mov_b32_e32 v30, v8
	s_waitcnt vmcnt(1)
	v_and_b32_e32 v2, v12, v30
	s_waitcnt vmcnt(0)
	v_mad_u64_u32 v[8:9], s[26:27], v2, 24, v[28:29]
	v_and_b32_e32 v12, v13, v31
	v_mov_b32_e32 v2, v9
	v_mad_u64_u32 v[12:13], s[26:27], v12, 24, v[2:3]
	v_mov_b32_e32 v9, v12
	global_load_dwordx2 v[28:29], v[8:9], off glc
	s_waitcnt vmcnt(0)
	global_atomic_cmpswap_x2 v[8:9], v3, v[28:31], s[36:37] offset:24 glc
	s_waitcnt vmcnt(0)
	buffer_wbinvl1_vol
	v_cmp_eq_u64_e32 vcc, v[8:9], v[30:31]
	s_or_b64 s[24:25], vcc, s[24:25]
	s_andn2_b64 exec, exec, s[24:25]
	s_cbranch_execnz .LBB5_1077
; %bb.1078:                             ;   in Loop: Header=BB5_1019 Depth=1
	s_or_b64 exec, exec, s[24:25]
.LBB5_1079:                             ;   in Loop: Header=BB5_1019 Depth=1
	s_or_b64 exec, exec, s[22:23]
.LBB5_1080:                             ;   in Loop: Header=BB5_1019 Depth=1
	s_or_b64 exec, exec, s[20:21]
	global_load_dwordx2 v[12:13], v3, s[36:37] offset:40
	global_load_dwordx4 v[28:31], v3, s[36:37]
	v_readfirstlane_b32 s20, v8
	v_readfirstlane_b32 s21, v9
	s_mov_b64 s[22:23], exec
	s_waitcnt vmcnt(1)
	v_readfirstlane_b32 s24, v12
	v_readfirstlane_b32 s25, v13
	s_and_b64 s[24:25], s[20:21], s[24:25]
	s_mul_i32 s15, s25, 24
	s_mul_hi_u32 s26, s24, 24
	s_mul_i32 s27, s24, 24
	s_add_i32 s15, s26, s15
	v_mov_b32_e32 v2, s15
	s_waitcnt vmcnt(0)
	v_add_co_u32_e32 v32, vcc, s27, v28
	v_addc_co_u32_e32 v33, vcc, v29, v2, vcc
	s_and_saveexec_b64 s[26:27], s[4:5]
	s_cbranch_execz .LBB5_1082
; %bb.1081:                             ;   in Loop: Header=BB5_1019 Depth=1
	v_mov_b32_e32 v8, s22
	v_mov_b32_e32 v9, s23
	global_store_dwordx4 v[32:33], v[8:11], off offset:8
.LBB5_1082:                             ;   in Loop: Header=BB5_1019 Depth=1
	s_or_b64 exec, exec, s[26:27]
	s_lshl_b64 s[22:23], s[24:25], 12
	v_mov_b32_e32 v2, s23
	v_add_co_u32_e32 v30, vcc, s22, v30
	v_addc_co_u32_e32 v31, vcc, v31, v2, vcc
	v_cmp_gt_u64_e64 vcc, s[16:17], 56
	v_or_b32_e32 v2, 0, v7
	v_or_b32_e32 v8, v6, v34
	s_lshl_b32 s15, s18, 2
	v_cndmask_b32_e32 v13, v2, v7, vcc
	v_cndmask_b32_e32 v2, v8, v6, vcc
	s_add_i32 s15, s15, 28
	s_and_b32 s15, s15, 0x1e0
	v_and_b32_e32 v2, 0xffffff1f, v2
	v_or_b32_e32 v12, s15, v2
	v_readfirstlane_b32 s22, v30
	v_readfirstlane_b32 s23, v31
	s_nop 4
	global_store_dwordx4 v50, v[12:15], s[22:23]
	global_store_dwordx4 v50, v[16:19], s[22:23] offset:16
	global_store_dwordx4 v50, v[20:23], s[22:23] offset:32
	;; [unrolled: 1-line block ×3, first 2 shown]
	s_and_saveexec_b64 s[22:23], s[4:5]
	s_cbranch_execz .LBB5_1090
; %bb.1083:                             ;   in Loop: Header=BB5_1019 Depth=1
	global_load_dwordx2 v[16:17], v3, s[36:37] offset:32 glc
	global_load_dwordx2 v[6:7], v3, s[36:37] offset:40
	v_mov_b32_e32 v14, s20
	v_mov_b32_e32 v15, s21
	s_waitcnt vmcnt(0)
	v_readfirstlane_b32 s24, v6
	v_readfirstlane_b32 s25, v7
	s_and_b64 s[24:25], s[24:25], s[20:21]
	s_mul_i32 s15, s25, 24
	s_mul_hi_u32 s25, s24, 24
	s_mul_i32 s24, s24, 24
	s_add_i32 s15, s25, s15
	v_mov_b32_e32 v2, s15
	v_add_co_u32_e32 v12, vcc, s24, v28
	v_addc_co_u32_e32 v13, vcc, v29, v2, vcc
	global_store_dwordx2 v[12:13], v[16:17], off
	s_waitcnt vmcnt(0)
	global_atomic_cmpswap_x2 v[8:9], v3, v[14:17], s[36:37] offset:32 glc
	s_waitcnt vmcnt(0)
	v_cmp_ne_u64_e32 vcc, v[8:9], v[16:17]
	s_and_saveexec_b64 s[24:25], vcc
	s_cbranch_execz .LBB5_1086
; %bb.1084:                             ;   in Loop: Header=BB5_1019 Depth=1
	s_mov_b64 s[26:27], 0
.LBB5_1085:                             ;   Parent Loop BB5_1019 Depth=1
                                        ; =>  This Inner Loop Header: Depth=2
	s_sleep 1
	global_store_dwordx2 v[12:13], v[8:9], off
	v_mov_b32_e32 v6, s20
	v_mov_b32_e32 v7, s21
	s_waitcnt vmcnt(0)
	global_atomic_cmpswap_x2 v[6:7], v3, v[6:9], s[36:37] offset:32 glc
	s_waitcnt vmcnt(0)
	v_cmp_eq_u64_e32 vcc, v[6:7], v[8:9]
	v_mov_b32_e32 v9, v7
	s_or_b64 s[26:27], vcc, s[26:27]
	v_mov_b32_e32 v8, v6
	s_andn2_b64 exec, exec, s[26:27]
	s_cbranch_execnz .LBB5_1085
.LBB5_1086:                             ;   in Loop: Header=BB5_1019 Depth=1
	s_or_b64 exec, exec, s[24:25]
	global_load_dwordx2 v[6:7], v3, s[36:37] offset:16
	s_mov_b64 s[26:27], exec
	v_mbcnt_lo_u32_b32 v2, s26, 0
	v_mbcnt_hi_u32_b32 v2, s27, v2
	v_cmp_eq_u32_e32 vcc, 0, v2
	s_and_saveexec_b64 s[24:25], vcc
	s_cbranch_execz .LBB5_1088
; %bb.1087:                             ;   in Loop: Header=BB5_1019 Depth=1
	s_bcnt1_i32_b64 s15, s[26:27]
	v_mov_b32_e32 v2, s15
	s_waitcnt vmcnt(0)
	global_atomic_add_x2 v[6:7], v[2:3], off offset:8
.LBB5_1088:                             ;   in Loop: Header=BB5_1019 Depth=1
	s_or_b64 exec, exec, s[24:25]
	s_waitcnt vmcnt(0)
	global_load_dwordx2 v[8:9], v[6:7], off offset:16
	s_waitcnt vmcnt(0)
	v_cmp_eq_u64_e32 vcc, 0, v[8:9]
	s_cbranch_vccnz .LBB5_1090
; %bb.1089:                             ;   in Loop: Header=BB5_1019 Depth=1
	global_load_dword v2, v[6:7], off offset:24
	s_waitcnt vmcnt(0)
	global_store_dwordx2 v[8:9], v[2:3], off
	v_and_b32_e32 v2, 0xffffff, v2
	v_readfirstlane_b32 m0, v2
	s_sendmsg sendmsg(MSG_INTERRUPT)
.LBB5_1090:                             ;   in Loop: Header=BB5_1019 Depth=1
	s_or_b64 exec, exec, s[22:23]
	v_add_co_u32_e32 v6, vcc, v30, v50
	v_addc_co_u32_e32 v7, vcc, 0, v31, vcc
	s_branch .LBB5_1094
.LBB5_1091:                             ;   in Loop: Header=BB5_1094 Depth=2
	s_or_b64 exec, exec, s[22:23]
	v_readfirstlane_b32 s15, v2
	s_cmp_eq_u32 s15, 0
	s_cbranch_scc1 .LBB5_1093
; %bb.1092:                             ;   in Loop: Header=BB5_1094 Depth=2
	s_sleep 1
	s_cbranch_execnz .LBB5_1094
	s_branch .LBB5_1096
.LBB5_1093:                             ;   in Loop: Header=BB5_1019 Depth=1
	s_branch .LBB5_1096
.LBB5_1094:                             ;   Parent Loop BB5_1019 Depth=1
                                        ; =>  This Inner Loop Header: Depth=2
	v_mov_b32_e32 v2, 1
	s_and_saveexec_b64 s[22:23], s[4:5]
	s_cbranch_execz .LBB5_1091
; %bb.1095:                             ;   in Loop: Header=BB5_1094 Depth=2
	global_load_dword v2, v[32:33], off offset:20 glc
	s_waitcnt vmcnt(0)
	buffer_wbinvl1_vol
	v_and_b32_e32 v2, 1, v2
	s_branch .LBB5_1091
.LBB5_1096:                             ;   in Loop: Header=BB5_1019 Depth=1
	global_load_dwordx4 v[6:9], v[6:7], off
	s_and_saveexec_b64 s[22:23], s[4:5]
	s_cbranch_execz .LBB5_1018
; %bb.1097:                             ;   in Loop: Header=BB5_1019 Depth=1
	global_load_dwordx2 v[8:9], v3, s[36:37] offset:40
	global_load_dwordx2 v[16:17], v3, s[36:37] offset:24 glc
	global_load_dwordx2 v[18:19], v3, s[36:37]
	v_mov_b32_e32 v2, s21
	s_waitcnt vmcnt(2)
	v_add_co_u32_e32 v14, vcc, 1, v8
	v_addc_co_u32_e32 v15, vcc, 0, v9, vcc
	v_add_co_u32_e32 v12, vcc, s20, v14
	v_addc_co_u32_e32 v13, vcc, v15, v2, vcc
	v_cmp_eq_u64_e32 vcc, 0, v[12:13]
	v_cndmask_b32_e32 v13, v13, v15, vcc
	v_cndmask_b32_e32 v12, v12, v14, vcc
	v_and_b32_e32 v2, v13, v9
	v_and_b32_e32 v8, v12, v8
	v_mul_lo_u32 v2, v2, 24
	v_mul_hi_u32 v9, v8, 24
	v_mul_lo_u32 v8, v8, 24
	s_waitcnt vmcnt(1)
	v_mov_b32_e32 v14, v16
	v_mov_b32_e32 v15, v17
	v_add_u32_e32 v2, v9, v2
	s_waitcnt vmcnt(0)
	v_add_co_u32_e32 v8, vcc, v18, v8
	v_addc_co_u32_e32 v9, vcc, v19, v2, vcc
	global_store_dwordx2 v[8:9], v[16:17], off
	s_waitcnt vmcnt(0)
	global_atomic_cmpswap_x2 v[14:15], v3, v[12:15], s[36:37] offset:24 glc
	s_waitcnt vmcnt(0)
	v_cmp_ne_u64_e32 vcc, v[14:15], v[16:17]
	s_and_b64 exec, exec, vcc
	s_cbranch_execz .LBB5_1018
; %bb.1098:                             ;   in Loop: Header=BB5_1019 Depth=1
	s_mov_b64 s[4:5], 0
.LBB5_1099:                             ;   Parent Loop BB5_1019 Depth=1
                                        ; =>  This Inner Loop Header: Depth=2
	s_sleep 1
	global_store_dwordx2 v[8:9], v[14:15], off
	s_waitcnt vmcnt(0)
	global_atomic_cmpswap_x2 v[16:17], v3, v[12:15], s[36:37] offset:24 glc
	s_waitcnt vmcnt(0)
	v_cmp_eq_u64_e32 vcc, v[16:17], v[14:15]
	v_mov_b32_e32 v14, v16
	s_or_b64 s[4:5], vcc, s[4:5]
	v_mov_b32_e32 v15, v17
	s_andn2_b64 exec, exec, s[4:5]
	s_cbranch_execnz .LBB5_1099
	s_branch .LBB5_1018
.LBB5_1100:
	s_branch .LBB5_1128
.LBB5_1101:
                                        ; implicit-def: $vgpr6_vgpr7
	s_cbranch_execz .LBB5_1128
; %bb.1102:
	v_readfirstlane_b32 s4, v51
	v_mov_b32_e32 v10, 0
	v_mov_b32_e32 v11, 0
	v_cmp_eq_u32_e64 s[4:5], s4, v51
	s_and_saveexec_b64 s[10:11], s[4:5]
	s_cbranch_execz .LBB5_1108
; %bb.1103:
	v_mov_b32_e32 v2, 0
	global_load_dwordx2 v[8:9], v2, s[36:37] offset:24 glc
	s_waitcnt vmcnt(0)
	buffer_wbinvl1_vol
	global_load_dwordx2 v[6:7], v2, s[36:37] offset:40
	global_load_dwordx2 v[10:11], v2, s[36:37]
	s_waitcnt vmcnt(1)
	v_and_b32_e32 v3, v6, v8
	v_and_b32_e32 v6, v7, v9
	v_mul_lo_u32 v6, v6, 24
	v_mul_hi_u32 v7, v3, 24
	v_mul_lo_u32 v3, v3, 24
	v_add_u32_e32 v7, v7, v6
	s_waitcnt vmcnt(0)
	v_add_co_u32_e32 v6, vcc, v10, v3
	v_addc_co_u32_e32 v7, vcc, v11, v7, vcc
	global_load_dwordx2 v[6:7], v[6:7], off glc
	s_waitcnt vmcnt(0)
	global_atomic_cmpswap_x2 v[10:11], v2, v[6:9], s[36:37] offset:24 glc
	s_waitcnt vmcnt(0)
	buffer_wbinvl1_vol
	v_cmp_ne_u64_e32 vcc, v[10:11], v[8:9]
	s_and_saveexec_b64 s[16:17], vcc
	s_cbranch_execz .LBB5_1107
; %bb.1104:
	s_mov_b64 s[18:19], 0
.LBB5_1105:                             ; =>This Inner Loop Header: Depth=1
	s_sleep 1
	global_load_dwordx2 v[6:7], v2, s[36:37] offset:40
	global_load_dwordx2 v[12:13], v2, s[36:37]
	v_mov_b32_e32 v8, v10
	v_mov_b32_e32 v9, v11
	s_waitcnt vmcnt(1)
	v_and_b32_e32 v3, v6, v8
	s_waitcnt vmcnt(0)
	v_mad_u64_u32 v[10:11], s[20:21], v3, 24, v[12:13]
	v_and_b32_e32 v6, v7, v9
	v_mov_b32_e32 v3, v11
	v_mad_u64_u32 v[6:7], s[20:21], v6, 24, v[3:4]
	v_mov_b32_e32 v11, v6
	global_load_dwordx2 v[6:7], v[10:11], off glc
	s_waitcnt vmcnt(0)
	global_atomic_cmpswap_x2 v[10:11], v2, v[6:9], s[36:37] offset:24 glc
	s_waitcnt vmcnt(0)
	buffer_wbinvl1_vol
	v_cmp_eq_u64_e32 vcc, v[10:11], v[8:9]
	s_or_b64 s[18:19], vcc, s[18:19]
	s_andn2_b64 exec, exec, s[18:19]
	s_cbranch_execnz .LBB5_1105
; %bb.1106:
	s_or_b64 exec, exec, s[18:19]
.LBB5_1107:
	s_or_b64 exec, exec, s[16:17]
.LBB5_1108:
	s_or_b64 exec, exec, s[10:11]
	v_mov_b32_e32 v2, 0
	global_load_dwordx2 v[12:13], v2, s[36:37] offset:40
	global_load_dwordx4 v[6:9], v2, s[36:37]
	v_readfirstlane_b32 s10, v10
	v_readfirstlane_b32 s11, v11
	s_mov_b64 s[16:17], exec
	s_waitcnt vmcnt(1)
	v_readfirstlane_b32 s18, v12
	v_readfirstlane_b32 s19, v13
	s_and_b64 s[18:19], s[10:11], s[18:19]
	s_mul_i32 s15, s19, 24
	s_mul_hi_u32 s20, s18, 24
	s_mul_i32 s21, s18, 24
	s_add_i32 s15, s20, s15
	v_mov_b32_e32 v3, s15
	s_waitcnt vmcnt(0)
	v_add_co_u32_e32 v10, vcc, s21, v6
	v_addc_co_u32_e32 v11, vcc, v7, v3, vcc
	s_and_saveexec_b64 s[20:21], s[4:5]
	s_cbranch_execz .LBB5_1110
; %bb.1109:
	v_mov_b32_e32 v12, s16
	v_mov_b32_e32 v13, s17
	;; [unrolled: 1-line block ×4, first 2 shown]
	global_store_dwordx4 v[10:11], v[12:15], off offset:8
.LBB5_1110:
	s_or_b64 exec, exec, s[20:21]
	s_lshl_b64 s[16:17], s[18:19], 12
	v_mov_b32_e32 v3, s17
	v_add_co_u32_e32 v12, vcc, s16, v8
	v_addc_co_u32_e32 v13, vcc, v9, v3, vcc
	s_movk_i32 s15, 0xff1f
	v_and_or_b32 v0, v0, s15, 32
	s_mov_b32 s16, 0
	v_mov_b32_e32 v3, v2
	v_readfirstlane_b32 s20, v12
	v_readfirstlane_b32 s21, v13
	v_add_co_u32_e32 v8, vcc, v12, v50
	s_mov_b32 s17, s16
	s_mov_b32 s18, s16
	;; [unrolled: 1-line block ×3, first 2 shown]
	s_nop 0
	global_store_dwordx4 v50, v[0:3], s[20:21]
	v_addc_co_u32_e32 v9, vcc, 0, v13, vcc
	v_mov_b32_e32 v0, s16
	v_mov_b32_e32 v1, s17
	;; [unrolled: 1-line block ×4, first 2 shown]
	global_store_dwordx4 v50, v[0:3], s[20:21] offset:16
	global_store_dwordx4 v50, v[0:3], s[20:21] offset:32
	;; [unrolled: 1-line block ×3, first 2 shown]
	s_and_saveexec_b64 s[16:17], s[4:5]
	s_cbranch_execz .LBB5_1118
; %bb.1111:
	v_mov_b32_e32 v12, 0
	global_load_dwordx2 v[15:16], v12, s[36:37] offset:32 glc
	global_load_dwordx2 v[0:1], v12, s[36:37] offset:40
	v_mov_b32_e32 v13, s10
	v_mov_b32_e32 v14, s11
	s_waitcnt vmcnt(0)
	v_readfirstlane_b32 s18, v0
	v_readfirstlane_b32 s19, v1
	s_and_b64 s[18:19], s[18:19], s[10:11]
	s_mul_i32 s15, s19, 24
	s_mul_hi_u32 s19, s18, 24
	s_mul_i32 s18, s18, 24
	s_add_i32 s15, s19, s15
	v_mov_b32_e32 v0, s15
	v_add_co_u32_e32 v6, vcc, s18, v6
	v_addc_co_u32_e32 v7, vcc, v7, v0, vcc
	global_store_dwordx2 v[6:7], v[15:16], off
	s_waitcnt vmcnt(0)
	global_atomic_cmpswap_x2 v[2:3], v12, v[13:16], s[36:37] offset:32 glc
	s_waitcnt vmcnt(0)
	v_cmp_ne_u64_e32 vcc, v[2:3], v[15:16]
	s_and_saveexec_b64 s[18:19], vcc
	s_cbranch_execz .LBB5_1114
; %bb.1112:
	s_mov_b64 s[20:21], 0
.LBB5_1113:                             ; =>This Inner Loop Header: Depth=1
	s_sleep 1
	global_store_dwordx2 v[6:7], v[2:3], off
	v_mov_b32_e32 v0, s10
	v_mov_b32_e32 v1, s11
	s_waitcnt vmcnt(0)
	global_atomic_cmpswap_x2 v[0:1], v12, v[0:3], s[36:37] offset:32 glc
	s_waitcnt vmcnt(0)
	v_cmp_eq_u64_e32 vcc, v[0:1], v[2:3]
	v_mov_b32_e32 v3, v1
	s_or_b64 s[20:21], vcc, s[20:21]
	v_mov_b32_e32 v2, v0
	s_andn2_b64 exec, exec, s[20:21]
	s_cbranch_execnz .LBB5_1113
.LBB5_1114:
	s_or_b64 exec, exec, s[18:19]
	v_mov_b32_e32 v3, 0
	global_load_dwordx2 v[0:1], v3, s[36:37] offset:16
	s_mov_b64 s[18:19], exec
	v_mbcnt_lo_u32_b32 v2, s18, 0
	v_mbcnt_hi_u32_b32 v2, s19, v2
	v_cmp_eq_u32_e32 vcc, 0, v2
	s_and_saveexec_b64 s[20:21], vcc
	s_cbranch_execz .LBB5_1116
; %bb.1115:
	s_bcnt1_i32_b64 s15, s[18:19]
	v_mov_b32_e32 v2, s15
	s_waitcnt vmcnt(0)
	global_atomic_add_x2 v[0:1], v[2:3], off offset:8
.LBB5_1116:
	s_or_b64 exec, exec, s[20:21]
	s_waitcnt vmcnt(0)
	global_load_dwordx2 v[2:3], v[0:1], off offset:16
	s_waitcnt vmcnt(0)
	v_cmp_eq_u64_e32 vcc, 0, v[2:3]
	s_cbranch_vccnz .LBB5_1118
; %bb.1117:
	global_load_dword v0, v[0:1], off offset:24
	v_mov_b32_e32 v1, 0
	s_waitcnt vmcnt(0)
	global_store_dwordx2 v[2:3], v[0:1], off
	v_and_b32_e32 v0, 0xffffff, v0
	v_readfirstlane_b32 m0, v0
	s_sendmsg sendmsg(MSG_INTERRUPT)
.LBB5_1118:
	s_or_b64 exec, exec, s[16:17]
	s_branch .LBB5_1122
.LBB5_1119:                             ;   in Loop: Header=BB5_1122 Depth=1
	s_or_b64 exec, exec, s[16:17]
	v_readfirstlane_b32 s15, v0
	s_cmp_eq_u32 s15, 0
	s_cbranch_scc1 .LBB5_1121
; %bb.1120:                             ;   in Loop: Header=BB5_1122 Depth=1
	s_sleep 1
	s_cbranch_execnz .LBB5_1122
	s_branch .LBB5_1124
.LBB5_1121:
	s_branch .LBB5_1124
.LBB5_1122:                             ; =>This Inner Loop Header: Depth=1
	v_mov_b32_e32 v0, 1
	s_and_saveexec_b64 s[16:17], s[4:5]
	s_cbranch_execz .LBB5_1119
; %bb.1123:                             ;   in Loop: Header=BB5_1122 Depth=1
	global_load_dword v0, v[10:11], off offset:20 glc
	s_waitcnt vmcnt(0)
	buffer_wbinvl1_vol
	v_and_b32_e32 v0, 1, v0
	s_branch .LBB5_1119
.LBB5_1124:
	global_load_dwordx2 v[6:7], v[8:9], off
	s_and_saveexec_b64 s[16:17], s[4:5]
	s_cbranch_execz .LBB5_1127
; %bb.1125:
	v_mov_b32_e32 v10, 0
	global_load_dwordx2 v[2:3], v10, s[36:37] offset:40
	global_load_dwordx2 v[11:12], v10, s[36:37] offset:24 glc
	global_load_dwordx2 v[8:9], v10, s[36:37]
	v_mov_b32_e32 v1, s11
	s_mov_b64 s[4:5], 0
	s_waitcnt vmcnt(2)
	v_add_co_u32_e32 v13, vcc, 1, v2
	v_addc_co_u32_e32 v14, vcc, 0, v3, vcc
	v_add_co_u32_e32 v0, vcc, s10, v13
	v_addc_co_u32_e32 v1, vcc, v14, v1, vcc
	v_cmp_eq_u64_e32 vcc, 0, v[0:1]
	v_cndmask_b32_e32 v1, v1, v14, vcc
	v_cndmask_b32_e32 v0, v0, v13, vcc
	v_and_b32_e32 v3, v1, v3
	v_and_b32_e32 v2, v0, v2
	v_mul_lo_u32 v3, v3, 24
	v_mul_hi_u32 v13, v2, 24
	v_mul_lo_u32 v14, v2, 24
	s_waitcnt vmcnt(1)
	v_mov_b32_e32 v2, v11
	v_add_u32_e32 v3, v13, v3
	s_waitcnt vmcnt(0)
	v_add_co_u32_e32 v8, vcc, v8, v14
	v_addc_co_u32_e32 v9, vcc, v9, v3, vcc
	global_store_dwordx2 v[8:9], v[11:12], off
	v_mov_b32_e32 v3, v12
	s_waitcnt vmcnt(0)
	global_atomic_cmpswap_x2 v[2:3], v10, v[0:3], s[36:37] offset:24 glc
	s_waitcnt vmcnt(0)
	v_cmp_ne_u64_e32 vcc, v[2:3], v[11:12]
	s_and_b64 exec, exec, vcc
	s_cbranch_execz .LBB5_1127
.LBB5_1126:                             ; =>This Inner Loop Header: Depth=1
	s_sleep 1
	global_store_dwordx2 v[8:9], v[2:3], off
	s_waitcnt vmcnt(0)
	global_atomic_cmpswap_x2 v[11:12], v10, v[0:3], s[36:37] offset:24 glc
	s_waitcnt vmcnt(0)
	v_cmp_eq_u64_e32 vcc, v[11:12], v[2:3]
	v_mov_b32_e32 v2, v11
	s_or_b64 s[4:5], vcc, s[4:5]
	v_mov_b32_e32 v3, v12
	s_andn2_b64 exec, exec, s[4:5]
	s_cbranch_execnz .LBB5_1126
.LBB5_1127:
	s_or_b64 exec, exec, s[16:17]
.LBB5_1128:
	v_readfirstlane_b32 s4, v51
	v_mov_b32_e32 v10, 0
	v_mov_b32_e32 v11, 0
	v_cmp_eq_u32_e64 s[4:5], s4, v51
	s_and_saveexec_b64 s[10:11], s[4:5]
	s_cbranch_execz .LBB5_1134
; %bb.1129:
	s_waitcnt vmcnt(0)
	v_mov_b32_e32 v0, 0
	global_load_dwordx2 v[12:13], v0, s[36:37] offset:24 glc
	s_waitcnt vmcnt(0)
	buffer_wbinvl1_vol
	global_load_dwordx2 v[1:2], v0, s[36:37] offset:40
	global_load_dwordx2 v[8:9], v0, s[36:37]
	s_waitcnt vmcnt(1)
	v_and_b32_e32 v1, v1, v12
	v_and_b32_e32 v2, v2, v13
	v_mul_lo_u32 v2, v2, 24
	v_mul_hi_u32 v3, v1, 24
	v_mul_lo_u32 v1, v1, 24
	v_add_u32_e32 v2, v3, v2
	s_waitcnt vmcnt(0)
	v_add_co_u32_e32 v1, vcc, v8, v1
	v_addc_co_u32_e32 v2, vcc, v9, v2, vcc
	global_load_dwordx2 v[10:11], v[1:2], off glc
	s_waitcnt vmcnt(0)
	global_atomic_cmpswap_x2 v[10:11], v0, v[10:13], s[36:37] offset:24 glc
	s_waitcnt vmcnt(0)
	buffer_wbinvl1_vol
	v_cmp_ne_u64_e32 vcc, v[10:11], v[12:13]
	s_and_saveexec_b64 s[16:17], vcc
	s_cbranch_execz .LBB5_1133
; %bb.1130:
	s_mov_b64 s[18:19], 0
.LBB5_1131:                             ; =>This Inner Loop Header: Depth=1
	s_sleep 1
	global_load_dwordx2 v[1:2], v0, s[36:37] offset:40
	global_load_dwordx2 v[8:9], v0, s[36:37]
	v_mov_b32_e32 v13, v11
	v_mov_b32_e32 v12, v10
	s_waitcnt vmcnt(1)
	v_and_b32_e32 v1, v1, v12
	s_waitcnt vmcnt(0)
	v_mad_u64_u32 v[8:9], s[20:21], v1, 24, v[8:9]
	v_and_b32_e32 v2, v2, v13
	v_mov_b32_e32 v1, v9
	v_mad_u64_u32 v[1:2], s[20:21], v2, 24, v[1:2]
	v_mov_b32_e32 v9, v1
	global_load_dwordx2 v[10:11], v[8:9], off glc
	s_waitcnt vmcnt(0)
	global_atomic_cmpswap_x2 v[10:11], v0, v[10:13], s[36:37] offset:24 glc
	s_waitcnt vmcnt(0)
	buffer_wbinvl1_vol
	v_cmp_eq_u64_e32 vcc, v[10:11], v[12:13]
	s_or_b64 s[18:19], vcc, s[18:19]
	s_andn2_b64 exec, exec, s[18:19]
	s_cbranch_execnz .LBB5_1131
; %bb.1132:
	s_or_b64 exec, exec, s[18:19]
.LBB5_1133:
	s_or_b64 exec, exec, s[16:17]
.LBB5_1134:
	s_or_b64 exec, exec, s[10:11]
	s_waitcnt vmcnt(0)
	v_mov_b32_e32 v9, 0
	global_load_dwordx2 v[12:13], v9, s[36:37] offset:40
	global_load_dwordx4 v[0:3], v9, s[36:37]
	v_readfirstlane_b32 s10, v10
	v_readfirstlane_b32 s11, v11
	s_mov_b64 s[16:17], exec
	s_waitcnt vmcnt(1)
	v_readfirstlane_b32 s18, v12
	v_readfirstlane_b32 s19, v13
	s_and_b64 s[18:19], s[10:11], s[18:19]
	s_mul_i32 s15, s19, 24
	s_mul_hi_u32 s20, s18, 24
	s_mul_i32 s21, s18, 24
	s_add_i32 s15, s20, s15
	v_mov_b32_e32 v8, s15
	s_waitcnt vmcnt(0)
	v_add_co_u32_e32 v10, vcc, s21, v0
	v_addc_co_u32_e32 v11, vcc, v1, v8, vcc
	s_and_saveexec_b64 s[20:21], s[4:5]
	s_cbranch_execz .LBB5_1136
; %bb.1135:
	v_mov_b32_e32 v12, s16
	v_mov_b32_e32 v13, s17
	v_mov_b32_e32 v14, 2
	v_mov_b32_e32 v15, 1
	global_store_dwordx4 v[10:11], v[12:15], off offset:8
.LBB5_1136:
	s_or_b64 exec, exec, s[20:21]
	s_lshl_b64 s[16:17], s[18:19], 12
	v_mov_b32_e32 v8, s17
	v_add_co_u32_e32 v2, vcc, s16, v2
	v_addc_co_u32_e32 v3, vcc, v3, v8, vcc
	s_movk_i32 s15, 0xff1d
	v_and_or_b32 v6, v6, s15, 34
	s_mov_b32 s16, 0
	v_mov_b32_e32 v8, 58
	v_readfirstlane_b32 s20, v2
	v_readfirstlane_b32 s21, v3
	s_mov_b32 s17, s16
	s_mov_b32 s18, s16
	;; [unrolled: 1-line block ×3, first 2 shown]
	s_nop 1
	global_store_dwordx4 v50, v[6:9], s[20:21]
	s_nop 0
	v_mov_b32_e32 v6, s16
	v_mov_b32_e32 v7, s17
	;; [unrolled: 1-line block ×4, first 2 shown]
	global_store_dwordx4 v50, v[6:9], s[20:21] offset:16
	global_store_dwordx4 v50, v[6:9], s[20:21] offset:32
	;; [unrolled: 1-line block ×3, first 2 shown]
	s_and_saveexec_b64 s[16:17], s[4:5]
	s_cbranch_execz .LBB5_1144
; %bb.1137:
	v_mov_b32_e32 v8, 0
	global_load_dwordx2 v[14:15], v8, s[36:37] offset:32 glc
	global_load_dwordx2 v[2:3], v8, s[36:37] offset:40
	v_mov_b32_e32 v12, s10
	v_mov_b32_e32 v13, s11
	s_waitcnt vmcnt(0)
	v_readfirstlane_b32 s18, v2
	v_readfirstlane_b32 s19, v3
	s_and_b64 s[18:19], s[18:19], s[10:11]
	s_mul_i32 s15, s19, 24
	s_mul_hi_u32 s19, s18, 24
	s_mul_i32 s18, s18, 24
	s_add_i32 s15, s19, s15
	v_mov_b32_e32 v2, s15
	v_add_co_u32_e32 v6, vcc, s18, v0
	v_addc_co_u32_e32 v7, vcc, v1, v2, vcc
	global_store_dwordx2 v[6:7], v[14:15], off
	s_waitcnt vmcnt(0)
	global_atomic_cmpswap_x2 v[2:3], v8, v[12:15], s[36:37] offset:32 glc
	s_waitcnt vmcnt(0)
	v_cmp_ne_u64_e32 vcc, v[2:3], v[14:15]
	s_and_saveexec_b64 s[18:19], vcc
	s_cbranch_execz .LBB5_1140
; %bb.1138:
	s_mov_b64 s[20:21], 0
.LBB5_1139:                             ; =>This Inner Loop Header: Depth=1
	s_sleep 1
	global_store_dwordx2 v[6:7], v[2:3], off
	v_mov_b32_e32 v0, s10
	v_mov_b32_e32 v1, s11
	s_waitcnt vmcnt(0)
	global_atomic_cmpswap_x2 v[0:1], v8, v[0:3], s[36:37] offset:32 glc
	s_waitcnt vmcnt(0)
	v_cmp_eq_u64_e32 vcc, v[0:1], v[2:3]
	v_mov_b32_e32 v3, v1
	s_or_b64 s[20:21], vcc, s[20:21]
	v_mov_b32_e32 v2, v0
	s_andn2_b64 exec, exec, s[20:21]
	s_cbranch_execnz .LBB5_1139
.LBB5_1140:
	s_or_b64 exec, exec, s[18:19]
	v_mov_b32_e32 v3, 0
	global_load_dwordx2 v[0:1], v3, s[36:37] offset:16
	s_mov_b64 s[18:19], exec
	v_mbcnt_lo_u32_b32 v2, s18, 0
	v_mbcnt_hi_u32_b32 v2, s19, v2
	v_cmp_eq_u32_e32 vcc, 0, v2
	s_and_saveexec_b64 s[20:21], vcc
	s_cbranch_execz .LBB5_1142
; %bb.1141:
	s_bcnt1_i32_b64 s15, s[18:19]
	v_mov_b32_e32 v2, s15
	s_waitcnt vmcnt(0)
	global_atomic_add_x2 v[0:1], v[2:3], off offset:8
.LBB5_1142:
	s_or_b64 exec, exec, s[20:21]
	s_waitcnt vmcnt(0)
	global_load_dwordx2 v[2:3], v[0:1], off offset:16
	s_waitcnt vmcnt(0)
	v_cmp_eq_u64_e32 vcc, 0, v[2:3]
	s_cbranch_vccnz .LBB5_1144
; %bb.1143:
	global_load_dword v0, v[0:1], off offset:24
	v_mov_b32_e32 v1, 0
	s_waitcnt vmcnt(0)
	global_store_dwordx2 v[2:3], v[0:1], off
	v_and_b32_e32 v0, 0xffffff, v0
	v_readfirstlane_b32 m0, v0
	s_sendmsg sendmsg(MSG_INTERRUPT)
.LBB5_1144:
	s_or_b64 exec, exec, s[16:17]
	s_branch .LBB5_1148
.LBB5_1145:                             ;   in Loop: Header=BB5_1148 Depth=1
	s_or_b64 exec, exec, s[16:17]
	v_readfirstlane_b32 s15, v0
	s_cmp_eq_u32 s15, 0
	s_cbranch_scc1 .LBB5_1147
; %bb.1146:                             ;   in Loop: Header=BB5_1148 Depth=1
	s_sleep 1
	s_cbranch_execnz .LBB5_1148
	s_branch .LBB5_1150
.LBB5_1147:
	s_branch .LBB5_1150
.LBB5_1148:                             ; =>This Inner Loop Header: Depth=1
	v_mov_b32_e32 v0, 1
	s_and_saveexec_b64 s[16:17], s[4:5]
	s_cbranch_execz .LBB5_1145
; %bb.1149:                             ;   in Loop: Header=BB5_1148 Depth=1
	global_load_dword v0, v[10:11], off offset:20 glc
	s_waitcnt vmcnt(0)
	buffer_wbinvl1_vol
	v_and_b32_e32 v0, 1, v0
	s_branch .LBB5_1145
.LBB5_1150:
	s_and_saveexec_b64 s[16:17], s[4:5]
	s_cbranch_execz .LBB5_1153
; %bb.1151:
	v_mov_b32_e32 v8, 0
	global_load_dwordx2 v[2:3], v8, s[36:37] offset:40
	global_load_dwordx2 v[9:10], v8, s[36:37] offset:24 glc
	global_load_dwordx2 v[6:7], v8, s[36:37]
	v_mov_b32_e32 v1, s11
	s_mov_b64 s[4:5], 0
	s_waitcnt vmcnt(2)
	v_add_co_u32_e32 v11, vcc, 1, v2
	v_addc_co_u32_e32 v12, vcc, 0, v3, vcc
	v_add_co_u32_e32 v0, vcc, s10, v11
	v_addc_co_u32_e32 v1, vcc, v12, v1, vcc
	v_cmp_eq_u64_e32 vcc, 0, v[0:1]
	v_cndmask_b32_e32 v1, v1, v12, vcc
	v_cndmask_b32_e32 v0, v0, v11, vcc
	v_and_b32_e32 v3, v1, v3
	v_and_b32_e32 v2, v0, v2
	v_mul_lo_u32 v3, v3, 24
	v_mul_hi_u32 v11, v2, 24
	v_mul_lo_u32 v12, v2, 24
	s_waitcnt vmcnt(1)
	v_mov_b32_e32 v2, v9
	v_add_u32_e32 v3, v11, v3
	s_waitcnt vmcnt(0)
	v_add_co_u32_e32 v6, vcc, v6, v12
	v_addc_co_u32_e32 v7, vcc, v7, v3, vcc
	global_store_dwordx2 v[6:7], v[9:10], off
	v_mov_b32_e32 v3, v10
	s_waitcnt vmcnt(0)
	global_atomic_cmpswap_x2 v[2:3], v8, v[0:3], s[36:37] offset:24 glc
	s_waitcnt vmcnt(0)
	v_cmp_ne_u64_e32 vcc, v[2:3], v[9:10]
	s_and_b64 exec, exec, vcc
	s_cbranch_execz .LBB5_1153
.LBB5_1152:                             ; =>This Inner Loop Header: Depth=1
	s_sleep 1
	global_store_dwordx2 v[6:7], v[2:3], off
	s_waitcnt vmcnt(0)
	global_atomic_cmpswap_x2 v[9:10], v8, v[0:3], s[36:37] offset:24 glc
	s_waitcnt vmcnt(0)
	v_cmp_eq_u64_e32 vcc, v[9:10], v[2:3]
	v_mov_b32_e32 v2, v9
	s_or_b64 s[4:5], vcc, s[4:5]
	v_mov_b32_e32 v3, v10
	s_andn2_b64 exec, exec, s[4:5]
	s_cbranch_execnz .LBB5_1152
.LBB5_1153:
	s_or_b64 exec, exec, s[16:17]
	v_readfirstlane_b32 s4, v51
	v_mov_b32_e32 v8, 0
	v_mov_b32_e32 v9, 0
	v_cmp_eq_u32_e64 s[4:5], s4, v51
	s_and_saveexec_b64 s[10:11], s[4:5]
	s_cbranch_execz .LBB5_1159
; %bb.1154:
	v_mov_b32_e32 v0, 0
	global_load_dwordx2 v[10:11], v0, s[36:37] offset:24 glc
	s_waitcnt vmcnt(0)
	buffer_wbinvl1_vol
	global_load_dwordx2 v[1:2], v0, s[36:37] offset:40
	global_load_dwordx2 v[6:7], v0, s[36:37]
	s_waitcnt vmcnt(1)
	v_and_b32_e32 v1, v1, v10
	v_and_b32_e32 v2, v2, v11
	v_mul_lo_u32 v2, v2, 24
	v_mul_hi_u32 v3, v1, 24
	v_mul_lo_u32 v1, v1, 24
	v_add_u32_e32 v2, v3, v2
	s_waitcnt vmcnt(0)
	v_add_co_u32_e32 v1, vcc, v6, v1
	v_addc_co_u32_e32 v2, vcc, v7, v2, vcc
	global_load_dwordx2 v[8:9], v[1:2], off glc
	s_waitcnt vmcnt(0)
	global_atomic_cmpswap_x2 v[8:9], v0, v[8:11], s[36:37] offset:24 glc
	s_waitcnt vmcnt(0)
	buffer_wbinvl1_vol
	v_cmp_ne_u64_e32 vcc, v[8:9], v[10:11]
	s_and_saveexec_b64 s[16:17], vcc
	s_cbranch_execz .LBB5_1158
; %bb.1155:
	s_mov_b64 s[18:19], 0
.LBB5_1156:                             ; =>This Inner Loop Header: Depth=1
	s_sleep 1
	global_load_dwordx2 v[1:2], v0, s[36:37] offset:40
	global_load_dwordx2 v[6:7], v0, s[36:37]
	v_mov_b32_e32 v11, v9
	v_mov_b32_e32 v10, v8
	s_waitcnt vmcnt(1)
	v_and_b32_e32 v1, v1, v10
	s_waitcnt vmcnt(0)
	v_mad_u64_u32 v[6:7], s[20:21], v1, 24, v[6:7]
	v_and_b32_e32 v2, v2, v11
	v_mov_b32_e32 v1, v7
	v_mad_u64_u32 v[1:2], s[20:21], v2, 24, v[1:2]
	v_mov_b32_e32 v7, v1
	global_load_dwordx2 v[8:9], v[6:7], off glc
	s_waitcnt vmcnt(0)
	global_atomic_cmpswap_x2 v[8:9], v0, v[8:11], s[36:37] offset:24 glc
	s_waitcnt vmcnt(0)
	buffer_wbinvl1_vol
	v_cmp_eq_u64_e32 vcc, v[8:9], v[10:11]
	s_or_b64 s[18:19], vcc, s[18:19]
	s_andn2_b64 exec, exec, s[18:19]
	s_cbranch_execnz .LBB5_1156
; %bb.1157:
	s_or_b64 exec, exec, s[18:19]
.LBB5_1158:
	s_or_b64 exec, exec, s[16:17]
.LBB5_1159:
	s_or_b64 exec, exec, s[10:11]
	v_mov_b32_e32 v7, 0
	global_load_dwordx2 v[10:11], v7, s[36:37] offset:40
	global_load_dwordx4 v[0:3], v7, s[36:37]
	v_readfirstlane_b32 s10, v8
	v_readfirstlane_b32 s11, v9
	s_mov_b64 s[16:17], exec
	s_waitcnt vmcnt(1)
	v_readfirstlane_b32 s18, v10
	v_readfirstlane_b32 s19, v11
	s_and_b64 s[18:19], s[10:11], s[18:19]
	s_mul_i32 s15, s19, 24
	s_mul_hi_u32 s20, s18, 24
	s_mul_i32 s21, s18, 24
	s_add_i32 s15, s20, s15
	v_mov_b32_e32 v6, s15
	s_waitcnt vmcnt(0)
	v_add_co_u32_e32 v10, vcc, s21, v0
	v_addc_co_u32_e32 v11, vcc, v1, v6, vcc
	s_and_saveexec_b64 s[20:21], s[4:5]
	s_cbranch_execz .LBB5_1161
; %bb.1160:
	v_mov_b32_e32 v12, s16
	v_mov_b32_e32 v13, s17
	;; [unrolled: 1-line block ×4, first 2 shown]
	global_store_dwordx4 v[10:11], v[12:15], off offset:8
.LBB5_1161:
	s_or_b64 exec, exec, s[20:21]
	s_lshl_b64 s[16:17], s[18:19], 12
	v_mov_b32_e32 v6, s17
	v_add_co_u32_e32 v2, vcc, s16, v2
	v_addc_co_u32_e32 v3, vcc, v3, v6, vcc
	s_mov_b32 s16, 0
	v_mov_b32_e32 v6, 33
	v_mov_b32_e32 v8, v7
	;; [unrolled: 1-line block ×3, first 2 shown]
	v_readfirstlane_b32 s20, v2
	v_readfirstlane_b32 s21, v3
	v_add_co_u32_e32 v12, vcc, v2, v50
	s_mov_b32 s17, s16
	s_mov_b32 s18, s16
	;; [unrolled: 1-line block ×3, first 2 shown]
	s_nop 0
	global_store_dwordx4 v50, v[6:9], s[20:21]
	v_addc_co_u32_e32 v13, vcc, 0, v3, vcc
	v_mov_b32_e32 v6, s16
	v_mov_b32_e32 v7, s17
	;; [unrolled: 1-line block ×4, first 2 shown]
	global_store_dwordx4 v50, v[6:9], s[20:21] offset:16
	global_store_dwordx4 v50, v[6:9], s[20:21] offset:32
	;; [unrolled: 1-line block ×3, first 2 shown]
	s_and_saveexec_b64 s[16:17], s[4:5]
	s_cbranch_execz .LBB5_1169
; %bb.1162:
	v_mov_b32_e32 v8, 0
	global_load_dwordx2 v[16:17], v8, s[36:37] offset:32 glc
	global_load_dwordx2 v[2:3], v8, s[36:37] offset:40
	v_mov_b32_e32 v14, s10
	v_mov_b32_e32 v15, s11
	s_waitcnt vmcnt(0)
	v_readfirstlane_b32 s18, v2
	v_readfirstlane_b32 s19, v3
	s_and_b64 s[18:19], s[18:19], s[10:11]
	s_mul_i32 s15, s19, 24
	s_mul_hi_u32 s19, s18, 24
	s_mul_i32 s18, s18, 24
	s_add_i32 s15, s19, s15
	v_mov_b32_e32 v2, s15
	v_add_co_u32_e32 v6, vcc, s18, v0
	v_addc_co_u32_e32 v7, vcc, v1, v2, vcc
	global_store_dwordx2 v[6:7], v[16:17], off
	s_waitcnt vmcnt(0)
	global_atomic_cmpswap_x2 v[2:3], v8, v[14:17], s[36:37] offset:32 glc
	s_waitcnt vmcnt(0)
	v_cmp_ne_u64_e32 vcc, v[2:3], v[16:17]
	s_and_saveexec_b64 s[18:19], vcc
	s_cbranch_execz .LBB5_1165
; %bb.1163:
	s_mov_b64 s[20:21], 0
.LBB5_1164:                             ; =>This Inner Loop Header: Depth=1
	s_sleep 1
	global_store_dwordx2 v[6:7], v[2:3], off
	v_mov_b32_e32 v0, s10
	v_mov_b32_e32 v1, s11
	s_waitcnt vmcnt(0)
	global_atomic_cmpswap_x2 v[0:1], v8, v[0:3], s[36:37] offset:32 glc
	s_waitcnt vmcnt(0)
	v_cmp_eq_u64_e32 vcc, v[0:1], v[2:3]
	v_mov_b32_e32 v3, v1
	s_or_b64 s[20:21], vcc, s[20:21]
	v_mov_b32_e32 v2, v0
	s_andn2_b64 exec, exec, s[20:21]
	s_cbranch_execnz .LBB5_1164
.LBB5_1165:
	s_or_b64 exec, exec, s[18:19]
	v_mov_b32_e32 v3, 0
	global_load_dwordx2 v[0:1], v3, s[36:37] offset:16
	s_mov_b64 s[18:19], exec
	v_mbcnt_lo_u32_b32 v2, s18, 0
	v_mbcnt_hi_u32_b32 v2, s19, v2
	v_cmp_eq_u32_e32 vcc, 0, v2
	s_and_saveexec_b64 s[20:21], vcc
	s_cbranch_execz .LBB5_1167
; %bb.1166:
	s_bcnt1_i32_b64 s15, s[18:19]
	v_mov_b32_e32 v2, s15
	s_waitcnt vmcnt(0)
	global_atomic_add_x2 v[0:1], v[2:3], off offset:8
.LBB5_1167:
	s_or_b64 exec, exec, s[20:21]
	s_waitcnt vmcnt(0)
	global_load_dwordx2 v[2:3], v[0:1], off offset:16
	s_waitcnt vmcnt(0)
	v_cmp_eq_u64_e32 vcc, 0, v[2:3]
	s_cbranch_vccnz .LBB5_1169
; %bb.1168:
	global_load_dword v0, v[0:1], off offset:24
	v_mov_b32_e32 v1, 0
	s_waitcnt vmcnt(0)
	global_store_dwordx2 v[2:3], v[0:1], off
	v_and_b32_e32 v0, 0xffffff, v0
	v_readfirstlane_b32 m0, v0
	s_sendmsg sendmsg(MSG_INTERRUPT)
.LBB5_1169:
	s_or_b64 exec, exec, s[16:17]
	s_branch .LBB5_1173
.LBB5_1170:                             ;   in Loop: Header=BB5_1173 Depth=1
	s_or_b64 exec, exec, s[16:17]
	v_readfirstlane_b32 s15, v0
	s_cmp_eq_u32 s15, 0
	s_cbranch_scc1 .LBB5_1172
; %bb.1171:                             ;   in Loop: Header=BB5_1173 Depth=1
	s_sleep 1
	s_cbranch_execnz .LBB5_1173
	s_branch .LBB5_1175
.LBB5_1172:
	s_branch .LBB5_1175
.LBB5_1173:                             ; =>This Inner Loop Header: Depth=1
	v_mov_b32_e32 v0, 1
	s_and_saveexec_b64 s[16:17], s[4:5]
	s_cbranch_execz .LBB5_1170
; %bb.1174:                             ;   in Loop: Header=BB5_1173 Depth=1
	global_load_dword v0, v[10:11], off offset:20 glc
	s_waitcnt vmcnt(0)
	buffer_wbinvl1_vol
	v_and_b32_e32 v0, 1, v0
	s_branch .LBB5_1170
.LBB5_1175:
	global_load_dwordx2 v[0:1], v[12:13], off
	s_and_saveexec_b64 s[16:17], s[4:5]
	s_cbranch_execz .LBB5_1178
; %bb.1176:
	v_mov_b32_e32 v10, 0
	global_load_dwordx2 v[2:3], v10, s[36:37] offset:40
	global_load_dwordx2 v[11:12], v10, s[36:37] offset:24 glc
	global_load_dwordx2 v[13:14], v10, s[36:37]
	v_mov_b32_e32 v7, s11
	s_mov_b64 s[4:5], 0
	s_waitcnt vmcnt(2)
	v_add_co_u32_e32 v8, vcc, 1, v2
	v_addc_co_u32_e32 v9, vcc, 0, v3, vcc
	v_add_co_u32_e32 v6, vcc, s10, v8
	v_addc_co_u32_e32 v7, vcc, v9, v7, vcc
	v_cmp_eq_u64_e32 vcc, 0, v[6:7]
	v_cndmask_b32_e32 v7, v7, v9, vcc
	v_cndmask_b32_e32 v6, v6, v8, vcc
	v_and_b32_e32 v3, v7, v3
	v_and_b32_e32 v2, v6, v2
	v_mul_lo_u32 v3, v3, 24
	v_mul_hi_u32 v9, v2, 24
	v_mul_lo_u32 v2, v2, 24
	s_waitcnt vmcnt(1)
	v_mov_b32_e32 v8, v11
	v_add_u32_e32 v3, v9, v3
	s_waitcnt vmcnt(0)
	v_add_co_u32_e32 v2, vcc, v13, v2
	v_addc_co_u32_e32 v3, vcc, v14, v3, vcc
	global_store_dwordx2 v[2:3], v[11:12], off
	v_mov_b32_e32 v9, v12
	s_waitcnt vmcnt(0)
	global_atomic_cmpswap_x2 v[8:9], v10, v[6:9], s[36:37] offset:24 glc
	s_waitcnt vmcnt(0)
	v_cmp_ne_u64_e32 vcc, v[8:9], v[11:12]
	s_and_b64 exec, exec, vcc
	s_cbranch_execz .LBB5_1178
.LBB5_1177:                             ; =>This Inner Loop Header: Depth=1
	s_sleep 1
	global_store_dwordx2 v[2:3], v[8:9], off
	s_waitcnt vmcnt(0)
	global_atomic_cmpswap_x2 v[11:12], v10, v[6:9], s[36:37] offset:24 glc
	s_waitcnt vmcnt(0)
	v_cmp_eq_u64_e32 vcc, v[11:12], v[8:9]
	v_mov_b32_e32 v8, v11
	s_or_b64 s[4:5], vcc, s[4:5]
	v_mov_b32_e32 v9, v12
	s_andn2_b64 exec, exec, s[4:5]
	s_cbranch_execnz .LBB5_1177
.LBB5_1178:
	s_or_b64 exec, exec, s[16:17]
	s_and_b64 vcc, exec, s[38:39]
	s_cbranch_vccz .LBB5_1263
; %bb.1179:
	s_waitcnt vmcnt(0)
	v_and_b32_e32 v34, 2, v0
	v_mov_b32_e32 v3, 0
	v_and_b32_e32 v6, -3, v0
	v_mov_b32_e32 v7, v1
	s_mov_b64 s[16:17], 3
	v_mov_b32_e32 v10, 2
	v_mov_b32_e32 v11, 1
	s_getpc_b64 s[10:11]
	s_add_u32 s10, s10, .str.6@rel32@lo+4
	s_addc_u32 s11, s11, .str.6@rel32@hi+12
	s_branch .LBB5_1181
.LBB5_1180:                             ;   in Loop: Header=BB5_1181 Depth=1
	s_or_b64 exec, exec, s[22:23]
	s_sub_u32 s16, s16, s18
	s_subb_u32 s17, s17, s19
	s_add_u32 s10, s10, s18
	s_addc_u32 s11, s11, s19
	s_cmp_lg_u64 s[16:17], 0
	s_cbranch_scc0 .LBB5_1262
.LBB5_1181:                             ; =>This Loop Header: Depth=1
                                        ;     Child Loop BB5_1184 Depth 2
                                        ;     Child Loop BB5_1191 Depth 2
	;; [unrolled: 1-line block ×11, first 2 shown]
	v_cmp_lt_u64_e64 s[4:5], s[16:17], 56
	v_cmp_gt_u64_e64 s[20:21], s[16:17], 7
	s_and_b64 s[4:5], s[4:5], exec
	s_cselect_b32 s19, s17, 0
	s_cselect_b32 s18, s16, 56
	s_and_b64 vcc, exec, s[20:21]
	s_cbranch_vccnz .LBB5_1186
; %bb.1182:                             ;   in Loop: Header=BB5_1181 Depth=1
	v_mov_b32_e32 v14, 0
	s_cmp_eq_u64 s[16:17], 0
	v_mov_b32_e32 v15, 0
	s_mov_b64 s[4:5], 0
	s_cbranch_scc1 .LBB5_1185
; %bb.1183:                             ;   in Loop: Header=BB5_1181 Depth=1
	v_mov_b32_e32 v14, 0
	s_lshl_b64 s[20:21], s[18:19], 3
	s_mov_b64 s[22:23], 0
	v_mov_b32_e32 v15, 0
	s_mov_b64 s[24:25], s[10:11]
.LBB5_1184:                             ;   Parent Loop BB5_1181 Depth=1
                                        ; =>  This Inner Loop Header: Depth=2
	global_load_ubyte v2, v3, s[24:25]
	s_waitcnt vmcnt(0)
	v_and_b32_e32 v2, 0xffff, v2
	v_lshlrev_b64 v[8:9], s22, v[2:3]
	s_add_u32 s22, s22, 8
	s_addc_u32 s23, s23, 0
	s_add_u32 s24, s24, 1
	s_addc_u32 s25, s25, 0
	v_or_b32_e32 v14, v8, v14
	s_cmp_lg_u32 s20, s22
	v_or_b32_e32 v15, v9, v15
	s_cbranch_scc1 .LBB5_1184
.LBB5_1185:                             ;   in Loop: Header=BB5_1181 Depth=1
	s_mov_b32 s15, 0
	s_andn2_b64 vcc, exec, s[4:5]
	s_mov_b64 s[4:5], s[10:11]
	s_cbranch_vccz .LBB5_1187
	s_branch .LBB5_1188
.LBB5_1186:                             ;   in Loop: Header=BB5_1181 Depth=1
                                        ; implicit-def: $vgpr14_vgpr15
                                        ; implicit-def: $sgpr15
	s_mov_b64 s[4:5], s[10:11]
.LBB5_1187:                             ;   in Loop: Header=BB5_1181 Depth=1
	global_load_dwordx2 v[14:15], v3, s[10:11]
	s_add_i32 s15, s18, -8
	s_add_u32 s4, s10, 8
	s_addc_u32 s5, s11, 0
.LBB5_1188:                             ;   in Loop: Header=BB5_1181 Depth=1
	s_cmp_gt_u32 s15, 7
	s_cbranch_scc1 .LBB5_1192
; %bb.1189:                             ;   in Loop: Header=BB5_1181 Depth=1
	s_cmp_eq_u32 s15, 0
	s_cbranch_scc1 .LBB5_1193
; %bb.1190:                             ;   in Loop: Header=BB5_1181 Depth=1
	v_mov_b32_e32 v16, 0
	s_mov_b64 s[20:21], 0
	v_mov_b32_e32 v17, 0
	s_mov_b64 s[22:23], 0
.LBB5_1191:                             ;   Parent Loop BB5_1181 Depth=1
                                        ; =>  This Inner Loop Header: Depth=2
	s_add_u32 s24, s4, s22
	s_addc_u32 s25, s5, s23
	global_load_ubyte v2, v3, s[24:25]
	s_add_u32 s22, s22, 1
	s_addc_u32 s23, s23, 0
	s_waitcnt vmcnt(0)
	v_and_b32_e32 v2, 0xffff, v2
	v_lshlrev_b64 v[8:9], s20, v[2:3]
	s_add_u32 s20, s20, 8
	s_addc_u32 s21, s21, 0
	v_or_b32_e32 v16, v8, v16
	s_cmp_lg_u32 s15, s22
	v_or_b32_e32 v17, v9, v17
	s_cbranch_scc1 .LBB5_1191
	s_branch .LBB5_1194
.LBB5_1192:                             ;   in Loop: Header=BB5_1181 Depth=1
                                        ; implicit-def: $vgpr16_vgpr17
                                        ; implicit-def: $sgpr24
	s_branch .LBB5_1195
.LBB5_1193:                             ;   in Loop: Header=BB5_1181 Depth=1
	v_mov_b32_e32 v16, 0
	v_mov_b32_e32 v17, 0
.LBB5_1194:                             ;   in Loop: Header=BB5_1181 Depth=1
	s_mov_b32 s24, 0
	s_cbranch_execnz .LBB5_1196
.LBB5_1195:                             ;   in Loop: Header=BB5_1181 Depth=1
	global_load_dwordx2 v[16:17], v3, s[4:5]
	s_add_i32 s24, s15, -8
	s_add_u32 s4, s4, 8
	s_addc_u32 s5, s5, 0
.LBB5_1196:                             ;   in Loop: Header=BB5_1181 Depth=1
	s_cmp_gt_u32 s24, 7
	s_cbranch_scc1 .LBB5_1200
; %bb.1197:                             ;   in Loop: Header=BB5_1181 Depth=1
	s_cmp_eq_u32 s24, 0
	s_cbranch_scc1 .LBB5_1201
; %bb.1198:                             ;   in Loop: Header=BB5_1181 Depth=1
	v_mov_b32_e32 v18, 0
	s_mov_b64 s[20:21], 0
	v_mov_b32_e32 v19, 0
	s_mov_b64 s[22:23], 0
.LBB5_1199:                             ;   Parent Loop BB5_1181 Depth=1
                                        ; =>  This Inner Loop Header: Depth=2
	s_add_u32 s26, s4, s22
	s_addc_u32 s27, s5, s23
	global_load_ubyte v2, v3, s[26:27]
	s_add_u32 s22, s22, 1
	s_addc_u32 s23, s23, 0
	s_waitcnt vmcnt(0)
	v_and_b32_e32 v2, 0xffff, v2
	v_lshlrev_b64 v[8:9], s20, v[2:3]
	s_add_u32 s20, s20, 8
	s_addc_u32 s21, s21, 0
	v_or_b32_e32 v18, v8, v18
	s_cmp_lg_u32 s24, s22
	v_or_b32_e32 v19, v9, v19
	s_cbranch_scc1 .LBB5_1199
	s_branch .LBB5_1202
.LBB5_1200:                             ;   in Loop: Header=BB5_1181 Depth=1
                                        ; implicit-def: $sgpr15
	s_branch .LBB5_1203
.LBB5_1201:                             ;   in Loop: Header=BB5_1181 Depth=1
	v_mov_b32_e32 v18, 0
	v_mov_b32_e32 v19, 0
.LBB5_1202:                             ;   in Loop: Header=BB5_1181 Depth=1
	s_mov_b32 s15, 0
	s_cbranch_execnz .LBB5_1204
.LBB5_1203:                             ;   in Loop: Header=BB5_1181 Depth=1
	global_load_dwordx2 v[18:19], v3, s[4:5]
	s_add_i32 s15, s24, -8
	s_add_u32 s4, s4, 8
	s_addc_u32 s5, s5, 0
.LBB5_1204:                             ;   in Loop: Header=BB5_1181 Depth=1
	s_cmp_gt_u32 s15, 7
	s_cbranch_scc1 .LBB5_1208
; %bb.1205:                             ;   in Loop: Header=BB5_1181 Depth=1
	s_cmp_eq_u32 s15, 0
	s_cbranch_scc1 .LBB5_1209
; %bb.1206:                             ;   in Loop: Header=BB5_1181 Depth=1
	v_mov_b32_e32 v20, 0
	s_mov_b64 s[20:21], 0
	v_mov_b32_e32 v21, 0
	s_mov_b64 s[22:23], 0
.LBB5_1207:                             ;   Parent Loop BB5_1181 Depth=1
                                        ; =>  This Inner Loop Header: Depth=2
	s_add_u32 s24, s4, s22
	s_addc_u32 s25, s5, s23
	global_load_ubyte v2, v3, s[24:25]
	s_add_u32 s22, s22, 1
	s_addc_u32 s23, s23, 0
	s_waitcnt vmcnt(0)
	v_and_b32_e32 v2, 0xffff, v2
	v_lshlrev_b64 v[8:9], s20, v[2:3]
	s_add_u32 s20, s20, 8
	s_addc_u32 s21, s21, 0
	v_or_b32_e32 v20, v8, v20
	s_cmp_lg_u32 s15, s22
	v_or_b32_e32 v21, v9, v21
	s_cbranch_scc1 .LBB5_1207
	s_branch .LBB5_1210
.LBB5_1208:                             ;   in Loop: Header=BB5_1181 Depth=1
                                        ; implicit-def: $vgpr20_vgpr21
                                        ; implicit-def: $sgpr24
	s_branch .LBB5_1211
.LBB5_1209:                             ;   in Loop: Header=BB5_1181 Depth=1
	v_mov_b32_e32 v20, 0
	v_mov_b32_e32 v21, 0
.LBB5_1210:                             ;   in Loop: Header=BB5_1181 Depth=1
	s_mov_b32 s24, 0
	s_cbranch_execnz .LBB5_1212
.LBB5_1211:                             ;   in Loop: Header=BB5_1181 Depth=1
	global_load_dwordx2 v[20:21], v3, s[4:5]
	s_add_i32 s24, s15, -8
	s_add_u32 s4, s4, 8
	s_addc_u32 s5, s5, 0
.LBB5_1212:                             ;   in Loop: Header=BB5_1181 Depth=1
	s_cmp_gt_u32 s24, 7
	s_cbranch_scc1 .LBB5_1216
; %bb.1213:                             ;   in Loop: Header=BB5_1181 Depth=1
	s_cmp_eq_u32 s24, 0
	s_cbranch_scc1 .LBB5_1217
; %bb.1214:                             ;   in Loop: Header=BB5_1181 Depth=1
	v_mov_b32_e32 v22, 0
	s_mov_b64 s[20:21], 0
	v_mov_b32_e32 v23, 0
	s_mov_b64 s[22:23], 0
.LBB5_1215:                             ;   Parent Loop BB5_1181 Depth=1
                                        ; =>  This Inner Loop Header: Depth=2
	s_add_u32 s26, s4, s22
	s_addc_u32 s27, s5, s23
	global_load_ubyte v2, v3, s[26:27]
	s_add_u32 s22, s22, 1
	s_addc_u32 s23, s23, 0
	s_waitcnt vmcnt(0)
	v_and_b32_e32 v2, 0xffff, v2
	v_lshlrev_b64 v[8:9], s20, v[2:3]
	s_add_u32 s20, s20, 8
	s_addc_u32 s21, s21, 0
	v_or_b32_e32 v22, v8, v22
	s_cmp_lg_u32 s24, s22
	v_or_b32_e32 v23, v9, v23
	s_cbranch_scc1 .LBB5_1215
	s_branch .LBB5_1218
.LBB5_1216:                             ;   in Loop: Header=BB5_1181 Depth=1
                                        ; implicit-def: $sgpr15
	s_branch .LBB5_1219
.LBB5_1217:                             ;   in Loop: Header=BB5_1181 Depth=1
	v_mov_b32_e32 v22, 0
	v_mov_b32_e32 v23, 0
.LBB5_1218:                             ;   in Loop: Header=BB5_1181 Depth=1
	s_mov_b32 s15, 0
	s_cbranch_execnz .LBB5_1220
.LBB5_1219:                             ;   in Loop: Header=BB5_1181 Depth=1
	global_load_dwordx2 v[22:23], v3, s[4:5]
	s_add_i32 s15, s24, -8
	s_add_u32 s4, s4, 8
	s_addc_u32 s5, s5, 0
.LBB5_1220:                             ;   in Loop: Header=BB5_1181 Depth=1
	s_cmp_gt_u32 s15, 7
	s_cbranch_scc1 .LBB5_1224
; %bb.1221:                             ;   in Loop: Header=BB5_1181 Depth=1
	s_cmp_eq_u32 s15, 0
	s_cbranch_scc1 .LBB5_1225
; %bb.1222:                             ;   in Loop: Header=BB5_1181 Depth=1
	v_mov_b32_e32 v24, 0
	s_mov_b64 s[20:21], 0
	v_mov_b32_e32 v25, 0
	s_mov_b64 s[22:23], 0
.LBB5_1223:                             ;   Parent Loop BB5_1181 Depth=1
                                        ; =>  This Inner Loop Header: Depth=2
	s_add_u32 s24, s4, s22
	s_addc_u32 s25, s5, s23
	global_load_ubyte v2, v3, s[24:25]
	s_add_u32 s22, s22, 1
	s_addc_u32 s23, s23, 0
	s_waitcnt vmcnt(0)
	v_and_b32_e32 v2, 0xffff, v2
	v_lshlrev_b64 v[8:9], s20, v[2:3]
	s_add_u32 s20, s20, 8
	s_addc_u32 s21, s21, 0
	v_or_b32_e32 v24, v8, v24
	s_cmp_lg_u32 s15, s22
	v_or_b32_e32 v25, v9, v25
	s_cbranch_scc1 .LBB5_1223
	s_branch .LBB5_1226
.LBB5_1224:                             ;   in Loop: Header=BB5_1181 Depth=1
                                        ; implicit-def: $vgpr24_vgpr25
                                        ; implicit-def: $sgpr24
	s_branch .LBB5_1227
.LBB5_1225:                             ;   in Loop: Header=BB5_1181 Depth=1
	v_mov_b32_e32 v24, 0
	v_mov_b32_e32 v25, 0
.LBB5_1226:                             ;   in Loop: Header=BB5_1181 Depth=1
	s_mov_b32 s24, 0
	s_cbranch_execnz .LBB5_1228
.LBB5_1227:                             ;   in Loop: Header=BB5_1181 Depth=1
	global_load_dwordx2 v[24:25], v3, s[4:5]
	s_add_i32 s24, s15, -8
	s_add_u32 s4, s4, 8
	s_addc_u32 s5, s5, 0
.LBB5_1228:                             ;   in Loop: Header=BB5_1181 Depth=1
	s_cmp_gt_u32 s24, 7
	s_cbranch_scc1 .LBB5_1232
; %bb.1229:                             ;   in Loop: Header=BB5_1181 Depth=1
	s_cmp_eq_u32 s24, 0
	s_cbranch_scc1 .LBB5_1233
; %bb.1230:                             ;   in Loop: Header=BB5_1181 Depth=1
	v_mov_b32_e32 v26, 0
	s_mov_b64 s[20:21], 0
	v_mov_b32_e32 v27, 0
	s_mov_b64 s[22:23], s[4:5]
.LBB5_1231:                             ;   Parent Loop BB5_1181 Depth=1
                                        ; =>  This Inner Loop Header: Depth=2
	global_load_ubyte v2, v3, s[22:23]
	s_add_i32 s24, s24, -1
	s_waitcnt vmcnt(0)
	v_and_b32_e32 v2, 0xffff, v2
	v_lshlrev_b64 v[8:9], s20, v[2:3]
	s_add_u32 s20, s20, 8
	s_addc_u32 s21, s21, 0
	s_add_u32 s22, s22, 1
	s_addc_u32 s23, s23, 0
	v_or_b32_e32 v26, v8, v26
	s_cmp_lg_u32 s24, 0
	v_or_b32_e32 v27, v9, v27
	s_cbranch_scc1 .LBB5_1231
	s_branch .LBB5_1234
.LBB5_1232:                             ;   in Loop: Header=BB5_1181 Depth=1
	s_branch .LBB5_1235
.LBB5_1233:                             ;   in Loop: Header=BB5_1181 Depth=1
	v_mov_b32_e32 v26, 0
	v_mov_b32_e32 v27, 0
.LBB5_1234:                             ;   in Loop: Header=BB5_1181 Depth=1
	s_cbranch_execnz .LBB5_1236
.LBB5_1235:                             ;   in Loop: Header=BB5_1181 Depth=1
	global_load_dwordx2 v[26:27], v3, s[4:5]
.LBB5_1236:                             ;   in Loop: Header=BB5_1181 Depth=1
	v_readfirstlane_b32 s4, v51
	s_waitcnt vmcnt(0)
	v_mov_b32_e32 v8, 0
	v_mov_b32_e32 v9, 0
	v_cmp_eq_u32_e64 s[4:5], s4, v51
	s_and_saveexec_b64 s[20:21], s[4:5]
	s_cbranch_execz .LBB5_1242
; %bb.1237:                             ;   in Loop: Header=BB5_1181 Depth=1
	global_load_dwordx2 v[30:31], v3, s[36:37] offset:24 glc
	s_waitcnt vmcnt(0)
	buffer_wbinvl1_vol
	global_load_dwordx2 v[8:9], v3, s[36:37] offset:40
	global_load_dwordx2 v[12:13], v3, s[36:37]
	s_waitcnt vmcnt(1)
	v_and_b32_e32 v2, v8, v30
	v_and_b32_e32 v8, v9, v31
	v_mul_lo_u32 v8, v8, 24
	v_mul_hi_u32 v9, v2, 24
	v_mul_lo_u32 v2, v2, 24
	v_add_u32_e32 v9, v9, v8
	s_waitcnt vmcnt(0)
	v_add_co_u32_e32 v8, vcc, v12, v2
	v_addc_co_u32_e32 v9, vcc, v13, v9, vcc
	global_load_dwordx2 v[28:29], v[8:9], off glc
	s_waitcnt vmcnt(0)
	global_atomic_cmpswap_x2 v[8:9], v3, v[28:31], s[36:37] offset:24 glc
	s_waitcnt vmcnt(0)
	buffer_wbinvl1_vol
	v_cmp_ne_u64_e32 vcc, v[8:9], v[30:31]
	s_and_saveexec_b64 s[22:23], vcc
	s_cbranch_execz .LBB5_1241
; %bb.1238:                             ;   in Loop: Header=BB5_1181 Depth=1
	s_mov_b64 s[24:25], 0
.LBB5_1239:                             ;   Parent Loop BB5_1181 Depth=1
                                        ; =>  This Inner Loop Header: Depth=2
	s_sleep 1
	global_load_dwordx2 v[12:13], v3, s[36:37] offset:40
	global_load_dwordx2 v[28:29], v3, s[36:37]
	v_mov_b32_e32 v31, v9
	v_mov_b32_e32 v30, v8
	s_waitcnt vmcnt(1)
	v_and_b32_e32 v2, v12, v30
	s_waitcnt vmcnt(0)
	v_mad_u64_u32 v[8:9], s[26:27], v2, 24, v[28:29]
	v_and_b32_e32 v12, v13, v31
	v_mov_b32_e32 v2, v9
	v_mad_u64_u32 v[12:13], s[26:27], v12, 24, v[2:3]
	v_mov_b32_e32 v9, v12
	global_load_dwordx2 v[28:29], v[8:9], off glc
	s_waitcnt vmcnt(0)
	global_atomic_cmpswap_x2 v[8:9], v3, v[28:31], s[36:37] offset:24 glc
	s_waitcnt vmcnt(0)
	buffer_wbinvl1_vol
	v_cmp_eq_u64_e32 vcc, v[8:9], v[30:31]
	s_or_b64 s[24:25], vcc, s[24:25]
	s_andn2_b64 exec, exec, s[24:25]
	s_cbranch_execnz .LBB5_1239
; %bb.1240:                             ;   in Loop: Header=BB5_1181 Depth=1
	s_or_b64 exec, exec, s[24:25]
.LBB5_1241:                             ;   in Loop: Header=BB5_1181 Depth=1
	s_or_b64 exec, exec, s[22:23]
.LBB5_1242:                             ;   in Loop: Header=BB5_1181 Depth=1
	s_or_b64 exec, exec, s[20:21]
	global_load_dwordx2 v[12:13], v3, s[36:37] offset:40
	global_load_dwordx4 v[28:31], v3, s[36:37]
	v_readfirstlane_b32 s20, v8
	v_readfirstlane_b32 s21, v9
	s_mov_b64 s[22:23], exec
	s_waitcnt vmcnt(1)
	v_readfirstlane_b32 s24, v12
	v_readfirstlane_b32 s25, v13
	s_and_b64 s[24:25], s[20:21], s[24:25]
	s_mul_i32 s15, s25, 24
	s_mul_hi_u32 s26, s24, 24
	s_mul_i32 s27, s24, 24
	s_add_i32 s15, s26, s15
	v_mov_b32_e32 v2, s15
	s_waitcnt vmcnt(0)
	v_add_co_u32_e32 v32, vcc, s27, v28
	v_addc_co_u32_e32 v33, vcc, v29, v2, vcc
	s_and_saveexec_b64 s[26:27], s[4:5]
	s_cbranch_execz .LBB5_1244
; %bb.1243:                             ;   in Loop: Header=BB5_1181 Depth=1
	v_mov_b32_e32 v8, s22
	v_mov_b32_e32 v9, s23
	global_store_dwordx4 v[32:33], v[8:11], off offset:8
.LBB5_1244:                             ;   in Loop: Header=BB5_1181 Depth=1
	s_or_b64 exec, exec, s[26:27]
	s_lshl_b64 s[22:23], s[24:25], 12
	v_mov_b32_e32 v2, s23
	v_add_co_u32_e32 v30, vcc, s22, v30
	v_addc_co_u32_e32 v31, vcc, v31, v2, vcc
	v_cmp_gt_u64_e64 vcc, s[16:17], 56
	v_or_b32_e32 v2, 0, v7
	v_or_b32_e32 v8, v6, v34
	s_lshl_b32 s15, s18, 2
	v_cndmask_b32_e32 v13, v2, v7, vcc
	v_cndmask_b32_e32 v2, v8, v6, vcc
	s_add_i32 s15, s15, 28
	s_and_b32 s15, s15, 0x1e0
	v_and_b32_e32 v2, 0xffffff1f, v2
	v_or_b32_e32 v12, s15, v2
	v_readfirstlane_b32 s22, v30
	v_readfirstlane_b32 s23, v31
	s_nop 4
	global_store_dwordx4 v50, v[12:15], s[22:23]
	global_store_dwordx4 v50, v[16:19], s[22:23] offset:16
	global_store_dwordx4 v50, v[20:23], s[22:23] offset:32
	;; [unrolled: 1-line block ×3, first 2 shown]
	s_and_saveexec_b64 s[22:23], s[4:5]
	s_cbranch_execz .LBB5_1252
; %bb.1245:                             ;   in Loop: Header=BB5_1181 Depth=1
	global_load_dwordx2 v[16:17], v3, s[36:37] offset:32 glc
	global_load_dwordx2 v[6:7], v3, s[36:37] offset:40
	v_mov_b32_e32 v14, s20
	v_mov_b32_e32 v15, s21
	s_waitcnt vmcnt(0)
	v_readfirstlane_b32 s24, v6
	v_readfirstlane_b32 s25, v7
	s_and_b64 s[24:25], s[24:25], s[20:21]
	s_mul_i32 s15, s25, 24
	s_mul_hi_u32 s25, s24, 24
	s_mul_i32 s24, s24, 24
	s_add_i32 s15, s25, s15
	v_mov_b32_e32 v2, s15
	v_add_co_u32_e32 v12, vcc, s24, v28
	v_addc_co_u32_e32 v13, vcc, v29, v2, vcc
	global_store_dwordx2 v[12:13], v[16:17], off
	s_waitcnt vmcnt(0)
	global_atomic_cmpswap_x2 v[8:9], v3, v[14:17], s[36:37] offset:32 glc
	s_waitcnt vmcnt(0)
	v_cmp_ne_u64_e32 vcc, v[8:9], v[16:17]
	s_and_saveexec_b64 s[24:25], vcc
	s_cbranch_execz .LBB5_1248
; %bb.1246:                             ;   in Loop: Header=BB5_1181 Depth=1
	s_mov_b64 s[26:27], 0
.LBB5_1247:                             ;   Parent Loop BB5_1181 Depth=1
                                        ; =>  This Inner Loop Header: Depth=2
	s_sleep 1
	global_store_dwordx2 v[12:13], v[8:9], off
	v_mov_b32_e32 v6, s20
	v_mov_b32_e32 v7, s21
	s_waitcnt vmcnt(0)
	global_atomic_cmpswap_x2 v[6:7], v3, v[6:9], s[36:37] offset:32 glc
	s_waitcnt vmcnt(0)
	v_cmp_eq_u64_e32 vcc, v[6:7], v[8:9]
	v_mov_b32_e32 v9, v7
	s_or_b64 s[26:27], vcc, s[26:27]
	v_mov_b32_e32 v8, v6
	s_andn2_b64 exec, exec, s[26:27]
	s_cbranch_execnz .LBB5_1247
.LBB5_1248:                             ;   in Loop: Header=BB5_1181 Depth=1
	s_or_b64 exec, exec, s[24:25]
	global_load_dwordx2 v[6:7], v3, s[36:37] offset:16
	s_mov_b64 s[26:27], exec
	v_mbcnt_lo_u32_b32 v2, s26, 0
	v_mbcnt_hi_u32_b32 v2, s27, v2
	v_cmp_eq_u32_e32 vcc, 0, v2
	s_and_saveexec_b64 s[24:25], vcc
	s_cbranch_execz .LBB5_1250
; %bb.1249:                             ;   in Loop: Header=BB5_1181 Depth=1
	s_bcnt1_i32_b64 s15, s[26:27]
	v_mov_b32_e32 v2, s15
	s_waitcnt vmcnt(0)
	global_atomic_add_x2 v[6:7], v[2:3], off offset:8
.LBB5_1250:                             ;   in Loop: Header=BB5_1181 Depth=1
	s_or_b64 exec, exec, s[24:25]
	s_waitcnt vmcnt(0)
	global_load_dwordx2 v[8:9], v[6:7], off offset:16
	s_waitcnt vmcnt(0)
	v_cmp_eq_u64_e32 vcc, 0, v[8:9]
	s_cbranch_vccnz .LBB5_1252
; %bb.1251:                             ;   in Loop: Header=BB5_1181 Depth=1
	global_load_dword v2, v[6:7], off offset:24
	s_waitcnt vmcnt(0)
	global_store_dwordx2 v[8:9], v[2:3], off
	v_and_b32_e32 v2, 0xffffff, v2
	v_readfirstlane_b32 m0, v2
	s_sendmsg sendmsg(MSG_INTERRUPT)
.LBB5_1252:                             ;   in Loop: Header=BB5_1181 Depth=1
	s_or_b64 exec, exec, s[22:23]
	v_add_co_u32_e32 v6, vcc, v30, v50
	v_addc_co_u32_e32 v7, vcc, 0, v31, vcc
	s_branch .LBB5_1256
.LBB5_1253:                             ;   in Loop: Header=BB5_1256 Depth=2
	s_or_b64 exec, exec, s[22:23]
	v_readfirstlane_b32 s15, v2
	s_cmp_eq_u32 s15, 0
	s_cbranch_scc1 .LBB5_1255
; %bb.1254:                             ;   in Loop: Header=BB5_1256 Depth=2
	s_sleep 1
	s_cbranch_execnz .LBB5_1256
	s_branch .LBB5_1258
.LBB5_1255:                             ;   in Loop: Header=BB5_1181 Depth=1
	s_branch .LBB5_1258
.LBB5_1256:                             ;   Parent Loop BB5_1181 Depth=1
                                        ; =>  This Inner Loop Header: Depth=2
	v_mov_b32_e32 v2, 1
	s_and_saveexec_b64 s[22:23], s[4:5]
	s_cbranch_execz .LBB5_1253
; %bb.1257:                             ;   in Loop: Header=BB5_1256 Depth=2
	global_load_dword v2, v[32:33], off offset:20 glc
	s_waitcnt vmcnt(0)
	buffer_wbinvl1_vol
	v_and_b32_e32 v2, 1, v2
	s_branch .LBB5_1253
.LBB5_1258:                             ;   in Loop: Header=BB5_1181 Depth=1
	global_load_dwordx4 v[6:9], v[6:7], off
	s_and_saveexec_b64 s[22:23], s[4:5]
	s_cbranch_execz .LBB5_1180
; %bb.1259:                             ;   in Loop: Header=BB5_1181 Depth=1
	global_load_dwordx2 v[8:9], v3, s[36:37] offset:40
	global_load_dwordx2 v[16:17], v3, s[36:37] offset:24 glc
	global_load_dwordx2 v[18:19], v3, s[36:37]
	v_mov_b32_e32 v2, s21
	s_waitcnt vmcnt(2)
	v_add_co_u32_e32 v14, vcc, 1, v8
	v_addc_co_u32_e32 v15, vcc, 0, v9, vcc
	v_add_co_u32_e32 v12, vcc, s20, v14
	v_addc_co_u32_e32 v13, vcc, v15, v2, vcc
	v_cmp_eq_u64_e32 vcc, 0, v[12:13]
	v_cndmask_b32_e32 v13, v13, v15, vcc
	v_cndmask_b32_e32 v12, v12, v14, vcc
	v_and_b32_e32 v2, v13, v9
	v_and_b32_e32 v8, v12, v8
	v_mul_lo_u32 v2, v2, 24
	v_mul_hi_u32 v9, v8, 24
	v_mul_lo_u32 v8, v8, 24
	s_waitcnt vmcnt(1)
	v_mov_b32_e32 v14, v16
	v_mov_b32_e32 v15, v17
	v_add_u32_e32 v2, v9, v2
	s_waitcnt vmcnt(0)
	v_add_co_u32_e32 v8, vcc, v18, v8
	v_addc_co_u32_e32 v9, vcc, v19, v2, vcc
	global_store_dwordx2 v[8:9], v[16:17], off
	s_waitcnt vmcnt(0)
	global_atomic_cmpswap_x2 v[14:15], v3, v[12:15], s[36:37] offset:24 glc
	s_waitcnt vmcnt(0)
	v_cmp_ne_u64_e32 vcc, v[14:15], v[16:17]
	s_and_b64 exec, exec, vcc
	s_cbranch_execz .LBB5_1180
; %bb.1260:                             ;   in Loop: Header=BB5_1181 Depth=1
	s_mov_b64 s[4:5], 0
.LBB5_1261:                             ;   Parent Loop BB5_1181 Depth=1
                                        ; =>  This Inner Loop Header: Depth=2
	s_sleep 1
	global_store_dwordx2 v[8:9], v[14:15], off
	s_waitcnt vmcnt(0)
	global_atomic_cmpswap_x2 v[16:17], v3, v[12:15], s[36:37] offset:24 glc
	s_waitcnt vmcnt(0)
	v_cmp_eq_u64_e32 vcc, v[16:17], v[14:15]
	v_mov_b32_e32 v14, v16
	s_or_b64 s[4:5], vcc, s[4:5]
	v_mov_b32_e32 v15, v17
	s_andn2_b64 exec, exec, s[4:5]
	s_cbranch_execnz .LBB5_1261
	s_branch .LBB5_1180
.LBB5_1262:
	s_branch .LBB5_1290
.LBB5_1263:
                                        ; implicit-def: $vgpr6_vgpr7
	s_cbranch_execz .LBB5_1290
; %bb.1264:
	v_readfirstlane_b32 s4, v51
	v_mov_b32_e32 v10, 0
	v_mov_b32_e32 v11, 0
	v_cmp_eq_u32_e64 s[4:5], s4, v51
	s_and_saveexec_b64 s[10:11], s[4:5]
	s_cbranch_execz .LBB5_1270
; %bb.1265:
	v_mov_b32_e32 v2, 0
	global_load_dwordx2 v[8:9], v2, s[36:37] offset:24 glc
	s_waitcnt vmcnt(0)
	buffer_wbinvl1_vol
	global_load_dwordx2 v[6:7], v2, s[36:37] offset:40
	global_load_dwordx2 v[10:11], v2, s[36:37]
	s_waitcnt vmcnt(1)
	v_and_b32_e32 v3, v6, v8
	v_and_b32_e32 v6, v7, v9
	v_mul_lo_u32 v6, v6, 24
	v_mul_hi_u32 v7, v3, 24
	v_mul_lo_u32 v3, v3, 24
	v_add_u32_e32 v7, v7, v6
	s_waitcnt vmcnt(0)
	v_add_co_u32_e32 v6, vcc, v10, v3
	v_addc_co_u32_e32 v7, vcc, v11, v7, vcc
	global_load_dwordx2 v[6:7], v[6:7], off glc
	s_waitcnt vmcnt(0)
	global_atomic_cmpswap_x2 v[10:11], v2, v[6:9], s[36:37] offset:24 glc
	s_waitcnt vmcnt(0)
	buffer_wbinvl1_vol
	v_cmp_ne_u64_e32 vcc, v[10:11], v[8:9]
	s_and_saveexec_b64 s[16:17], vcc
	s_cbranch_execz .LBB5_1269
; %bb.1266:
	s_mov_b64 s[18:19], 0
.LBB5_1267:                             ; =>This Inner Loop Header: Depth=1
	s_sleep 1
	global_load_dwordx2 v[6:7], v2, s[36:37] offset:40
	global_load_dwordx2 v[12:13], v2, s[36:37]
	v_mov_b32_e32 v8, v10
	v_mov_b32_e32 v9, v11
	s_waitcnt vmcnt(1)
	v_and_b32_e32 v3, v6, v8
	s_waitcnt vmcnt(0)
	v_mad_u64_u32 v[10:11], s[20:21], v3, 24, v[12:13]
	v_and_b32_e32 v6, v7, v9
	v_mov_b32_e32 v3, v11
	v_mad_u64_u32 v[6:7], s[20:21], v6, 24, v[3:4]
	v_mov_b32_e32 v11, v6
	global_load_dwordx2 v[6:7], v[10:11], off glc
	s_waitcnt vmcnt(0)
	global_atomic_cmpswap_x2 v[10:11], v2, v[6:9], s[36:37] offset:24 glc
	s_waitcnt vmcnt(0)
	buffer_wbinvl1_vol
	v_cmp_eq_u64_e32 vcc, v[10:11], v[8:9]
	s_or_b64 s[18:19], vcc, s[18:19]
	s_andn2_b64 exec, exec, s[18:19]
	s_cbranch_execnz .LBB5_1267
; %bb.1268:
	s_or_b64 exec, exec, s[18:19]
.LBB5_1269:
	s_or_b64 exec, exec, s[16:17]
.LBB5_1270:
	s_or_b64 exec, exec, s[10:11]
	v_mov_b32_e32 v2, 0
	global_load_dwordx2 v[12:13], v2, s[36:37] offset:40
	global_load_dwordx4 v[6:9], v2, s[36:37]
	v_readfirstlane_b32 s10, v10
	v_readfirstlane_b32 s11, v11
	s_mov_b64 s[16:17], exec
	s_waitcnt vmcnt(1)
	v_readfirstlane_b32 s18, v12
	v_readfirstlane_b32 s19, v13
	s_and_b64 s[18:19], s[10:11], s[18:19]
	s_mul_i32 s15, s19, 24
	s_mul_hi_u32 s20, s18, 24
	s_mul_i32 s21, s18, 24
	s_add_i32 s15, s20, s15
	v_mov_b32_e32 v3, s15
	s_waitcnt vmcnt(0)
	v_add_co_u32_e32 v10, vcc, s21, v6
	v_addc_co_u32_e32 v11, vcc, v7, v3, vcc
	s_and_saveexec_b64 s[20:21], s[4:5]
	s_cbranch_execz .LBB5_1272
; %bb.1271:
	v_mov_b32_e32 v12, s16
	v_mov_b32_e32 v13, s17
	v_mov_b32_e32 v14, 2
	v_mov_b32_e32 v15, 1
	global_store_dwordx4 v[10:11], v[12:15], off offset:8
.LBB5_1272:
	s_or_b64 exec, exec, s[20:21]
	s_lshl_b64 s[16:17], s[18:19], 12
	v_mov_b32_e32 v3, s17
	v_add_co_u32_e32 v12, vcc, s16, v8
	v_addc_co_u32_e32 v13, vcc, v9, v3, vcc
	s_movk_i32 s15, 0xff1f
	v_and_or_b32 v0, v0, s15, 32
	s_mov_b32 s16, 0
	v_mov_b32_e32 v3, v2
	v_readfirstlane_b32 s20, v12
	v_readfirstlane_b32 s21, v13
	v_add_co_u32_e32 v8, vcc, v12, v50
	s_mov_b32 s17, s16
	s_mov_b32 s18, s16
	s_mov_b32 s19, s16
	s_nop 0
	global_store_dwordx4 v50, v[0:3], s[20:21]
	v_addc_co_u32_e32 v9, vcc, 0, v13, vcc
	v_mov_b32_e32 v0, s16
	v_mov_b32_e32 v1, s17
	;; [unrolled: 1-line block ×4, first 2 shown]
	global_store_dwordx4 v50, v[0:3], s[20:21] offset:16
	global_store_dwordx4 v50, v[0:3], s[20:21] offset:32
	;; [unrolled: 1-line block ×3, first 2 shown]
	s_and_saveexec_b64 s[16:17], s[4:5]
	s_cbranch_execz .LBB5_1280
; %bb.1273:
	v_mov_b32_e32 v12, 0
	global_load_dwordx2 v[15:16], v12, s[36:37] offset:32 glc
	global_load_dwordx2 v[0:1], v12, s[36:37] offset:40
	v_mov_b32_e32 v13, s10
	v_mov_b32_e32 v14, s11
	s_waitcnt vmcnt(0)
	v_readfirstlane_b32 s18, v0
	v_readfirstlane_b32 s19, v1
	s_and_b64 s[18:19], s[18:19], s[10:11]
	s_mul_i32 s15, s19, 24
	s_mul_hi_u32 s19, s18, 24
	s_mul_i32 s18, s18, 24
	s_add_i32 s15, s19, s15
	v_mov_b32_e32 v0, s15
	v_add_co_u32_e32 v6, vcc, s18, v6
	v_addc_co_u32_e32 v7, vcc, v7, v0, vcc
	global_store_dwordx2 v[6:7], v[15:16], off
	s_waitcnt vmcnt(0)
	global_atomic_cmpswap_x2 v[2:3], v12, v[13:16], s[36:37] offset:32 glc
	s_waitcnt vmcnt(0)
	v_cmp_ne_u64_e32 vcc, v[2:3], v[15:16]
	s_and_saveexec_b64 s[18:19], vcc
	s_cbranch_execz .LBB5_1276
; %bb.1274:
	s_mov_b64 s[20:21], 0
.LBB5_1275:                             ; =>This Inner Loop Header: Depth=1
	s_sleep 1
	global_store_dwordx2 v[6:7], v[2:3], off
	v_mov_b32_e32 v0, s10
	v_mov_b32_e32 v1, s11
	s_waitcnt vmcnt(0)
	global_atomic_cmpswap_x2 v[0:1], v12, v[0:3], s[36:37] offset:32 glc
	s_waitcnt vmcnt(0)
	v_cmp_eq_u64_e32 vcc, v[0:1], v[2:3]
	v_mov_b32_e32 v3, v1
	s_or_b64 s[20:21], vcc, s[20:21]
	v_mov_b32_e32 v2, v0
	s_andn2_b64 exec, exec, s[20:21]
	s_cbranch_execnz .LBB5_1275
.LBB5_1276:
	s_or_b64 exec, exec, s[18:19]
	v_mov_b32_e32 v3, 0
	global_load_dwordx2 v[0:1], v3, s[36:37] offset:16
	s_mov_b64 s[18:19], exec
	v_mbcnt_lo_u32_b32 v2, s18, 0
	v_mbcnt_hi_u32_b32 v2, s19, v2
	v_cmp_eq_u32_e32 vcc, 0, v2
	s_and_saveexec_b64 s[20:21], vcc
	s_cbranch_execz .LBB5_1278
; %bb.1277:
	s_bcnt1_i32_b64 s15, s[18:19]
	v_mov_b32_e32 v2, s15
	s_waitcnt vmcnt(0)
	global_atomic_add_x2 v[0:1], v[2:3], off offset:8
.LBB5_1278:
	s_or_b64 exec, exec, s[20:21]
	s_waitcnt vmcnt(0)
	global_load_dwordx2 v[2:3], v[0:1], off offset:16
	s_waitcnt vmcnt(0)
	v_cmp_eq_u64_e32 vcc, 0, v[2:3]
	s_cbranch_vccnz .LBB5_1280
; %bb.1279:
	global_load_dword v0, v[0:1], off offset:24
	v_mov_b32_e32 v1, 0
	s_waitcnt vmcnt(0)
	global_store_dwordx2 v[2:3], v[0:1], off
	v_and_b32_e32 v0, 0xffffff, v0
	v_readfirstlane_b32 m0, v0
	s_sendmsg sendmsg(MSG_INTERRUPT)
.LBB5_1280:
	s_or_b64 exec, exec, s[16:17]
	s_branch .LBB5_1284
.LBB5_1281:                             ;   in Loop: Header=BB5_1284 Depth=1
	s_or_b64 exec, exec, s[16:17]
	v_readfirstlane_b32 s15, v0
	s_cmp_eq_u32 s15, 0
	s_cbranch_scc1 .LBB5_1283
; %bb.1282:                             ;   in Loop: Header=BB5_1284 Depth=1
	s_sleep 1
	s_cbranch_execnz .LBB5_1284
	s_branch .LBB5_1286
.LBB5_1283:
	s_branch .LBB5_1286
.LBB5_1284:                             ; =>This Inner Loop Header: Depth=1
	v_mov_b32_e32 v0, 1
	s_and_saveexec_b64 s[16:17], s[4:5]
	s_cbranch_execz .LBB5_1281
; %bb.1285:                             ;   in Loop: Header=BB5_1284 Depth=1
	global_load_dword v0, v[10:11], off offset:20 glc
	s_waitcnt vmcnt(0)
	buffer_wbinvl1_vol
	v_and_b32_e32 v0, 1, v0
	s_branch .LBB5_1281
.LBB5_1286:
	global_load_dwordx2 v[6:7], v[8:9], off
	s_and_saveexec_b64 s[16:17], s[4:5]
	s_cbranch_execz .LBB5_1289
; %bb.1287:
	v_mov_b32_e32 v10, 0
	global_load_dwordx2 v[2:3], v10, s[36:37] offset:40
	global_load_dwordx2 v[11:12], v10, s[36:37] offset:24 glc
	global_load_dwordx2 v[8:9], v10, s[36:37]
	v_mov_b32_e32 v1, s11
	s_mov_b64 s[4:5], 0
	s_waitcnt vmcnt(2)
	v_add_co_u32_e32 v13, vcc, 1, v2
	v_addc_co_u32_e32 v14, vcc, 0, v3, vcc
	v_add_co_u32_e32 v0, vcc, s10, v13
	v_addc_co_u32_e32 v1, vcc, v14, v1, vcc
	v_cmp_eq_u64_e32 vcc, 0, v[0:1]
	v_cndmask_b32_e32 v1, v1, v14, vcc
	v_cndmask_b32_e32 v0, v0, v13, vcc
	v_and_b32_e32 v3, v1, v3
	v_and_b32_e32 v2, v0, v2
	v_mul_lo_u32 v3, v3, 24
	v_mul_hi_u32 v13, v2, 24
	v_mul_lo_u32 v14, v2, 24
	s_waitcnt vmcnt(1)
	v_mov_b32_e32 v2, v11
	v_add_u32_e32 v3, v13, v3
	s_waitcnt vmcnt(0)
	v_add_co_u32_e32 v8, vcc, v8, v14
	v_addc_co_u32_e32 v9, vcc, v9, v3, vcc
	global_store_dwordx2 v[8:9], v[11:12], off
	v_mov_b32_e32 v3, v12
	s_waitcnt vmcnt(0)
	global_atomic_cmpswap_x2 v[2:3], v10, v[0:3], s[36:37] offset:24 glc
	s_waitcnt vmcnt(0)
	v_cmp_ne_u64_e32 vcc, v[2:3], v[11:12]
	s_and_b64 exec, exec, vcc
	s_cbranch_execz .LBB5_1289
.LBB5_1288:                             ; =>This Inner Loop Header: Depth=1
	s_sleep 1
	global_store_dwordx2 v[8:9], v[2:3], off
	s_waitcnt vmcnt(0)
	global_atomic_cmpswap_x2 v[11:12], v10, v[0:3], s[36:37] offset:24 glc
	s_waitcnt vmcnt(0)
	v_cmp_eq_u64_e32 vcc, v[11:12], v[2:3]
	v_mov_b32_e32 v2, v11
	s_or_b64 s[4:5], vcc, s[4:5]
	v_mov_b32_e32 v3, v12
	s_andn2_b64 exec, exec, s[4:5]
	s_cbranch_execnz .LBB5_1288
.LBB5_1289:
	s_or_b64 exec, exec, s[16:17]
.LBB5_1290:
	v_readfirstlane_b32 s4, v51
	v_mov_b32_e32 v10, 0
	v_mov_b32_e32 v11, 0
	v_cmp_eq_u32_e64 s[4:5], s4, v51
	s_and_saveexec_b64 s[10:11], s[4:5]
	s_cbranch_execz .LBB5_1296
; %bb.1291:
	s_waitcnt vmcnt(0)
	v_mov_b32_e32 v0, 0
	global_load_dwordx2 v[12:13], v0, s[36:37] offset:24 glc
	s_waitcnt vmcnt(0)
	buffer_wbinvl1_vol
	global_load_dwordx2 v[1:2], v0, s[36:37] offset:40
	global_load_dwordx2 v[8:9], v0, s[36:37]
	s_waitcnt vmcnt(1)
	v_and_b32_e32 v1, v1, v12
	v_and_b32_e32 v2, v2, v13
	v_mul_lo_u32 v2, v2, 24
	v_mul_hi_u32 v3, v1, 24
	v_mul_lo_u32 v1, v1, 24
	v_add_u32_e32 v2, v3, v2
	s_waitcnt vmcnt(0)
	v_add_co_u32_e32 v1, vcc, v8, v1
	v_addc_co_u32_e32 v2, vcc, v9, v2, vcc
	global_load_dwordx2 v[10:11], v[1:2], off glc
	s_waitcnt vmcnt(0)
	global_atomic_cmpswap_x2 v[10:11], v0, v[10:13], s[36:37] offset:24 glc
	s_waitcnt vmcnt(0)
	buffer_wbinvl1_vol
	v_cmp_ne_u64_e32 vcc, v[10:11], v[12:13]
	s_and_saveexec_b64 s[16:17], vcc
	s_cbranch_execz .LBB5_1295
; %bb.1292:
	s_mov_b64 s[18:19], 0
.LBB5_1293:                             ; =>This Inner Loop Header: Depth=1
	s_sleep 1
	global_load_dwordx2 v[1:2], v0, s[36:37] offset:40
	global_load_dwordx2 v[8:9], v0, s[36:37]
	v_mov_b32_e32 v13, v11
	v_mov_b32_e32 v12, v10
	s_waitcnt vmcnt(1)
	v_and_b32_e32 v1, v1, v12
	s_waitcnt vmcnt(0)
	v_mad_u64_u32 v[8:9], s[20:21], v1, 24, v[8:9]
	v_and_b32_e32 v2, v2, v13
	v_mov_b32_e32 v1, v9
	v_mad_u64_u32 v[1:2], s[20:21], v2, 24, v[1:2]
	v_mov_b32_e32 v9, v1
	global_load_dwordx2 v[10:11], v[8:9], off glc
	s_waitcnt vmcnt(0)
	global_atomic_cmpswap_x2 v[10:11], v0, v[10:13], s[36:37] offset:24 glc
	s_waitcnt vmcnt(0)
	buffer_wbinvl1_vol
	v_cmp_eq_u64_e32 vcc, v[10:11], v[12:13]
	s_or_b64 s[18:19], vcc, s[18:19]
	s_andn2_b64 exec, exec, s[18:19]
	s_cbranch_execnz .LBB5_1293
; %bb.1294:
	s_or_b64 exec, exec, s[18:19]
.LBB5_1295:
	s_or_b64 exec, exec, s[16:17]
.LBB5_1296:
	s_or_b64 exec, exec, s[10:11]
	s_waitcnt vmcnt(0)
	v_mov_b32_e32 v9, 0
	global_load_dwordx2 v[12:13], v9, s[36:37] offset:40
	global_load_dwordx4 v[0:3], v9, s[36:37]
	v_readfirstlane_b32 s10, v10
	v_readfirstlane_b32 s11, v11
	s_mov_b64 s[16:17], exec
	s_waitcnt vmcnt(1)
	v_readfirstlane_b32 s18, v12
	v_readfirstlane_b32 s19, v13
	s_and_b64 s[18:19], s[10:11], s[18:19]
	s_mul_i32 s15, s19, 24
	s_mul_hi_u32 s20, s18, 24
	s_mul_i32 s21, s18, 24
	s_add_i32 s15, s20, s15
	v_mov_b32_e32 v8, s15
	s_waitcnt vmcnt(0)
	v_add_co_u32_e32 v10, vcc, s21, v0
	v_addc_co_u32_e32 v11, vcc, v1, v8, vcc
	s_and_saveexec_b64 s[20:21], s[4:5]
	s_cbranch_execz .LBB5_1298
; %bb.1297:
	v_mov_b32_e32 v12, s16
	v_mov_b32_e32 v13, s17
	;; [unrolled: 1-line block ×4, first 2 shown]
	global_store_dwordx4 v[10:11], v[12:15], off offset:8
.LBB5_1298:
	s_or_b64 exec, exec, s[20:21]
	s_lshl_b64 s[16:17], s[18:19], 12
	v_mov_b32_e32 v8, s17
	v_add_co_u32_e32 v2, vcc, s16, v2
	v_addc_co_u32_e32 v3, vcc, v3, v8, vcc
	s_movk_i32 s15, 0xff1d
	v_and_or_b32 v6, v6, s15, 34
	s_mov_b32 s16, 0
	v_mov_b32_e32 v8, 10
	v_readfirstlane_b32 s20, v2
	v_readfirstlane_b32 s21, v3
	s_mov_b32 s17, s16
	s_mov_b32 s18, s16
	;; [unrolled: 1-line block ×3, first 2 shown]
	s_nop 1
	global_store_dwordx4 v50, v[6:9], s[20:21]
	s_nop 0
	v_mov_b32_e32 v6, s16
	v_mov_b32_e32 v7, s17
	;; [unrolled: 1-line block ×4, first 2 shown]
	global_store_dwordx4 v50, v[6:9], s[20:21] offset:16
	global_store_dwordx4 v50, v[6:9], s[20:21] offset:32
	;; [unrolled: 1-line block ×3, first 2 shown]
	s_and_saveexec_b64 s[16:17], s[4:5]
	s_cbranch_execz .LBB5_1306
; %bb.1299:
	v_mov_b32_e32 v8, 0
	global_load_dwordx2 v[14:15], v8, s[36:37] offset:32 glc
	global_load_dwordx2 v[2:3], v8, s[36:37] offset:40
	v_mov_b32_e32 v12, s10
	v_mov_b32_e32 v13, s11
	s_waitcnt vmcnt(0)
	v_readfirstlane_b32 s18, v2
	v_readfirstlane_b32 s19, v3
	s_and_b64 s[18:19], s[18:19], s[10:11]
	s_mul_i32 s15, s19, 24
	s_mul_hi_u32 s19, s18, 24
	s_mul_i32 s18, s18, 24
	s_add_i32 s15, s19, s15
	v_mov_b32_e32 v2, s15
	v_add_co_u32_e32 v6, vcc, s18, v0
	v_addc_co_u32_e32 v7, vcc, v1, v2, vcc
	global_store_dwordx2 v[6:7], v[14:15], off
	s_waitcnt vmcnt(0)
	global_atomic_cmpswap_x2 v[2:3], v8, v[12:15], s[36:37] offset:32 glc
	s_waitcnt vmcnt(0)
	v_cmp_ne_u64_e32 vcc, v[2:3], v[14:15]
	s_and_saveexec_b64 s[18:19], vcc
	s_cbranch_execz .LBB5_1302
; %bb.1300:
	s_mov_b64 s[20:21], 0
.LBB5_1301:                             ; =>This Inner Loop Header: Depth=1
	s_sleep 1
	global_store_dwordx2 v[6:7], v[2:3], off
	v_mov_b32_e32 v0, s10
	v_mov_b32_e32 v1, s11
	s_waitcnt vmcnt(0)
	global_atomic_cmpswap_x2 v[0:1], v8, v[0:3], s[36:37] offset:32 glc
	s_waitcnt vmcnt(0)
	v_cmp_eq_u64_e32 vcc, v[0:1], v[2:3]
	v_mov_b32_e32 v3, v1
	s_or_b64 s[20:21], vcc, s[20:21]
	v_mov_b32_e32 v2, v0
	s_andn2_b64 exec, exec, s[20:21]
	s_cbranch_execnz .LBB5_1301
.LBB5_1302:
	s_or_b64 exec, exec, s[18:19]
	v_mov_b32_e32 v3, 0
	global_load_dwordx2 v[0:1], v3, s[36:37] offset:16
	s_mov_b64 s[18:19], exec
	v_mbcnt_lo_u32_b32 v2, s18, 0
	v_mbcnt_hi_u32_b32 v2, s19, v2
	v_cmp_eq_u32_e32 vcc, 0, v2
	s_and_saveexec_b64 s[20:21], vcc
	s_cbranch_execz .LBB5_1304
; %bb.1303:
	s_bcnt1_i32_b64 s15, s[18:19]
	v_mov_b32_e32 v2, s15
	s_waitcnt vmcnt(0)
	global_atomic_add_x2 v[0:1], v[2:3], off offset:8
.LBB5_1304:
	s_or_b64 exec, exec, s[20:21]
	s_waitcnt vmcnt(0)
	global_load_dwordx2 v[2:3], v[0:1], off offset:16
	s_waitcnt vmcnt(0)
	v_cmp_eq_u64_e32 vcc, 0, v[2:3]
	s_cbranch_vccnz .LBB5_1306
; %bb.1305:
	global_load_dword v0, v[0:1], off offset:24
	v_mov_b32_e32 v1, 0
	s_waitcnt vmcnt(0)
	global_store_dwordx2 v[2:3], v[0:1], off
	v_and_b32_e32 v0, 0xffffff, v0
	v_readfirstlane_b32 m0, v0
	s_sendmsg sendmsg(MSG_INTERRUPT)
.LBB5_1306:
	s_or_b64 exec, exec, s[16:17]
	s_branch .LBB5_1310
.LBB5_1307:                             ;   in Loop: Header=BB5_1310 Depth=1
	s_or_b64 exec, exec, s[16:17]
	v_readfirstlane_b32 s15, v0
	s_cmp_eq_u32 s15, 0
	s_cbranch_scc1 .LBB5_1309
; %bb.1308:                             ;   in Loop: Header=BB5_1310 Depth=1
	s_sleep 1
	s_cbranch_execnz .LBB5_1310
	s_branch .LBB5_1312
.LBB5_1309:
	s_branch .LBB5_1312
.LBB5_1310:                             ; =>This Inner Loop Header: Depth=1
	v_mov_b32_e32 v0, 1
	s_and_saveexec_b64 s[16:17], s[4:5]
	s_cbranch_execz .LBB5_1307
; %bb.1311:                             ;   in Loop: Header=BB5_1310 Depth=1
	global_load_dword v0, v[10:11], off offset:20 glc
	s_waitcnt vmcnt(0)
	buffer_wbinvl1_vol
	v_and_b32_e32 v0, 1, v0
	s_branch .LBB5_1307
.LBB5_1312:
	s_and_saveexec_b64 s[16:17], s[4:5]
	s_cbranch_execz .LBB5_1315
; %bb.1313:
	v_mov_b32_e32 v8, 0
	global_load_dwordx2 v[2:3], v8, s[36:37] offset:40
	global_load_dwordx2 v[9:10], v8, s[36:37] offset:24 glc
	global_load_dwordx2 v[6:7], v8, s[36:37]
	v_mov_b32_e32 v1, s11
	s_mov_b64 s[4:5], 0
	s_waitcnt vmcnt(2)
	v_add_co_u32_e32 v11, vcc, 1, v2
	v_addc_co_u32_e32 v12, vcc, 0, v3, vcc
	v_add_co_u32_e32 v0, vcc, s10, v11
	v_addc_co_u32_e32 v1, vcc, v12, v1, vcc
	v_cmp_eq_u64_e32 vcc, 0, v[0:1]
	v_cndmask_b32_e32 v1, v1, v12, vcc
	v_cndmask_b32_e32 v0, v0, v11, vcc
	v_and_b32_e32 v3, v1, v3
	v_and_b32_e32 v2, v0, v2
	v_mul_lo_u32 v3, v3, 24
	v_mul_hi_u32 v11, v2, 24
	v_mul_lo_u32 v12, v2, 24
	s_waitcnt vmcnt(1)
	v_mov_b32_e32 v2, v9
	v_add_u32_e32 v3, v11, v3
	s_waitcnt vmcnt(0)
	v_add_co_u32_e32 v6, vcc, v6, v12
	v_addc_co_u32_e32 v7, vcc, v7, v3, vcc
	global_store_dwordx2 v[6:7], v[9:10], off
	v_mov_b32_e32 v3, v10
	s_waitcnt vmcnt(0)
	global_atomic_cmpswap_x2 v[2:3], v8, v[0:3], s[36:37] offset:24 glc
	s_waitcnt vmcnt(0)
	v_cmp_ne_u64_e32 vcc, v[2:3], v[9:10]
	s_and_b64 exec, exec, vcc
	s_cbranch_execz .LBB5_1315
.LBB5_1314:                             ; =>This Inner Loop Header: Depth=1
	s_sleep 1
	global_store_dwordx2 v[6:7], v[2:3], off
	s_waitcnt vmcnt(0)
	global_atomic_cmpswap_x2 v[9:10], v8, v[0:3], s[36:37] offset:24 glc
	s_waitcnt vmcnt(0)
	v_cmp_eq_u64_e32 vcc, v[9:10], v[2:3]
	v_mov_b32_e32 v2, v9
	s_or_b64 s[4:5], vcc, s[4:5]
	v_mov_b32_e32 v3, v10
	s_andn2_b64 exec, exec, s[4:5]
	s_cbranch_execnz .LBB5_1314
.LBB5_1315:
	s_or_b64 exec, exec, s[16:17]
	v_readfirstlane_b32 s4, v51
	v_mov_b32_e32 v8, 0
	v_mov_b32_e32 v9, 0
	v_cmp_eq_u32_e64 s[4:5], s4, v51
	s_and_saveexec_b64 s[10:11], s[4:5]
	s_cbranch_execz .LBB5_1321
; %bb.1316:
	v_mov_b32_e32 v0, 0
	global_load_dwordx2 v[10:11], v0, s[36:37] offset:24 glc
	s_waitcnt vmcnt(0)
	buffer_wbinvl1_vol
	global_load_dwordx2 v[1:2], v0, s[36:37] offset:40
	global_load_dwordx2 v[6:7], v0, s[36:37]
	s_waitcnt vmcnt(1)
	v_and_b32_e32 v1, v1, v10
	v_and_b32_e32 v2, v2, v11
	v_mul_lo_u32 v2, v2, 24
	v_mul_hi_u32 v3, v1, 24
	v_mul_lo_u32 v1, v1, 24
	v_add_u32_e32 v2, v3, v2
	s_waitcnt vmcnt(0)
	v_add_co_u32_e32 v1, vcc, v6, v1
	v_addc_co_u32_e32 v2, vcc, v7, v2, vcc
	global_load_dwordx2 v[8:9], v[1:2], off glc
	s_waitcnt vmcnt(0)
	global_atomic_cmpswap_x2 v[8:9], v0, v[8:11], s[36:37] offset:24 glc
	s_waitcnt vmcnt(0)
	buffer_wbinvl1_vol
	v_cmp_ne_u64_e32 vcc, v[8:9], v[10:11]
	s_and_saveexec_b64 s[16:17], vcc
	s_cbranch_execz .LBB5_1320
; %bb.1317:
	s_mov_b64 s[18:19], 0
.LBB5_1318:                             ; =>This Inner Loop Header: Depth=1
	s_sleep 1
	global_load_dwordx2 v[1:2], v0, s[36:37] offset:40
	global_load_dwordx2 v[6:7], v0, s[36:37]
	v_mov_b32_e32 v11, v9
	v_mov_b32_e32 v10, v8
	s_waitcnt vmcnt(1)
	v_and_b32_e32 v1, v1, v10
	s_waitcnt vmcnt(0)
	v_mad_u64_u32 v[6:7], s[20:21], v1, 24, v[6:7]
	v_and_b32_e32 v2, v2, v11
	v_mov_b32_e32 v1, v7
	v_mad_u64_u32 v[1:2], s[20:21], v2, 24, v[1:2]
	v_mov_b32_e32 v7, v1
	global_load_dwordx2 v[8:9], v[6:7], off glc
	s_waitcnt vmcnt(0)
	global_atomic_cmpswap_x2 v[8:9], v0, v[8:11], s[36:37] offset:24 glc
	s_waitcnt vmcnt(0)
	buffer_wbinvl1_vol
	v_cmp_eq_u64_e32 vcc, v[8:9], v[10:11]
	s_or_b64 s[18:19], vcc, s[18:19]
	s_andn2_b64 exec, exec, s[18:19]
	s_cbranch_execnz .LBB5_1318
; %bb.1319:
	s_or_b64 exec, exec, s[18:19]
.LBB5_1320:
	s_or_b64 exec, exec, s[16:17]
.LBB5_1321:
	s_or_b64 exec, exec, s[10:11]
	v_mov_b32_e32 v7, 0
	global_load_dwordx2 v[10:11], v7, s[36:37] offset:40
	global_load_dwordx4 v[0:3], v7, s[36:37]
	v_readfirstlane_b32 s10, v8
	v_readfirstlane_b32 s11, v9
	s_mov_b64 s[16:17], exec
	s_waitcnt vmcnt(1)
	v_readfirstlane_b32 s18, v10
	v_readfirstlane_b32 s19, v11
	s_and_b64 s[18:19], s[10:11], s[18:19]
	s_mul_i32 s15, s19, 24
	s_mul_hi_u32 s20, s18, 24
	s_mul_i32 s21, s18, 24
	s_add_i32 s15, s20, s15
	v_mov_b32_e32 v6, s15
	s_waitcnt vmcnt(0)
	v_add_co_u32_e32 v10, vcc, s21, v0
	v_addc_co_u32_e32 v11, vcc, v1, v6, vcc
	s_and_saveexec_b64 s[20:21], s[4:5]
	s_cbranch_execz .LBB5_1323
; %bb.1322:
	v_mov_b32_e32 v12, s16
	v_mov_b32_e32 v13, s17
	;; [unrolled: 1-line block ×4, first 2 shown]
	global_store_dwordx4 v[10:11], v[12:15], off offset:8
.LBB5_1323:
	s_or_b64 exec, exec, s[20:21]
	s_lshl_b64 s[16:17], s[18:19], 12
	v_mov_b32_e32 v6, s17
	v_add_co_u32_e32 v2, vcc, s16, v2
	v_addc_co_u32_e32 v3, vcc, v3, v6, vcc
	s_mov_b32 s16, 0
	v_mov_b32_e32 v6, 33
	v_mov_b32_e32 v8, v7
	;; [unrolled: 1-line block ×3, first 2 shown]
	v_readfirstlane_b32 s20, v2
	v_readfirstlane_b32 s21, v3
	v_add_co_u32_e32 v12, vcc, v2, v50
	s_mov_b32 s17, s16
	s_mov_b32 s18, s16
	;; [unrolled: 1-line block ×3, first 2 shown]
	s_nop 0
	global_store_dwordx4 v50, v[6:9], s[20:21]
	v_addc_co_u32_e32 v13, vcc, 0, v3, vcc
	v_mov_b32_e32 v6, s16
	v_mov_b32_e32 v7, s17
	;; [unrolled: 1-line block ×4, first 2 shown]
	global_store_dwordx4 v50, v[6:9], s[20:21] offset:16
	global_store_dwordx4 v50, v[6:9], s[20:21] offset:32
	;; [unrolled: 1-line block ×3, first 2 shown]
	s_and_saveexec_b64 s[16:17], s[4:5]
	s_cbranch_execz .LBB5_1331
; %bb.1324:
	v_mov_b32_e32 v8, 0
	global_load_dwordx2 v[16:17], v8, s[36:37] offset:32 glc
	global_load_dwordx2 v[2:3], v8, s[36:37] offset:40
	v_mov_b32_e32 v14, s10
	v_mov_b32_e32 v15, s11
	s_waitcnt vmcnt(0)
	v_readfirstlane_b32 s18, v2
	v_readfirstlane_b32 s19, v3
	s_and_b64 s[18:19], s[18:19], s[10:11]
	s_mul_i32 s15, s19, 24
	s_mul_hi_u32 s19, s18, 24
	s_mul_i32 s18, s18, 24
	s_add_i32 s15, s19, s15
	v_mov_b32_e32 v2, s15
	v_add_co_u32_e32 v6, vcc, s18, v0
	v_addc_co_u32_e32 v7, vcc, v1, v2, vcc
	global_store_dwordx2 v[6:7], v[16:17], off
	s_waitcnt vmcnt(0)
	global_atomic_cmpswap_x2 v[2:3], v8, v[14:17], s[36:37] offset:32 glc
	s_waitcnt vmcnt(0)
	v_cmp_ne_u64_e32 vcc, v[2:3], v[16:17]
	s_and_saveexec_b64 s[18:19], vcc
	s_cbranch_execz .LBB5_1327
; %bb.1325:
	s_mov_b64 s[20:21], 0
.LBB5_1326:                             ; =>This Inner Loop Header: Depth=1
	s_sleep 1
	global_store_dwordx2 v[6:7], v[2:3], off
	v_mov_b32_e32 v0, s10
	v_mov_b32_e32 v1, s11
	s_waitcnt vmcnt(0)
	global_atomic_cmpswap_x2 v[0:1], v8, v[0:3], s[36:37] offset:32 glc
	s_waitcnt vmcnt(0)
	v_cmp_eq_u64_e32 vcc, v[0:1], v[2:3]
	v_mov_b32_e32 v3, v1
	s_or_b64 s[20:21], vcc, s[20:21]
	v_mov_b32_e32 v2, v0
	s_andn2_b64 exec, exec, s[20:21]
	s_cbranch_execnz .LBB5_1326
.LBB5_1327:
	s_or_b64 exec, exec, s[18:19]
	v_mov_b32_e32 v3, 0
	global_load_dwordx2 v[0:1], v3, s[36:37] offset:16
	s_mov_b64 s[18:19], exec
	v_mbcnt_lo_u32_b32 v2, s18, 0
	v_mbcnt_hi_u32_b32 v2, s19, v2
	v_cmp_eq_u32_e32 vcc, 0, v2
	s_and_saveexec_b64 s[20:21], vcc
	s_cbranch_execz .LBB5_1329
; %bb.1328:
	s_bcnt1_i32_b64 s15, s[18:19]
	v_mov_b32_e32 v2, s15
	s_waitcnt vmcnt(0)
	global_atomic_add_x2 v[0:1], v[2:3], off offset:8
.LBB5_1329:
	s_or_b64 exec, exec, s[20:21]
	s_waitcnt vmcnt(0)
	global_load_dwordx2 v[2:3], v[0:1], off offset:16
	s_waitcnt vmcnt(0)
	v_cmp_eq_u64_e32 vcc, 0, v[2:3]
	s_cbranch_vccnz .LBB5_1331
; %bb.1330:
	global_load_dword v0, v[0:1], off offset:24
	v_mov_b32_e32 v1, 0
	s_waitcnt vmcnt(0)
	global_store_dwordx2 v[2:3], v[0:1], off
	v_and_b32_e32 v0, 0xffffff, v0
	v_readfirstlane_b32 m0, v0
	s_sendmsg sendmsg(MSG_INTERRUPT)
.LBB5_1331:
	s_or_b64 exec, exec, s[16:17]
	s_branch .LBB5_1335
.LBB5_1332:                             ;   in Loop: Header=BB5_1335 Depth=1
	s_or_b64 exec, exec, s[16:17]
	v_readfirstlane_b32 s15, v0
	s_cmp_eq_u32 s15, 0
	s_cbranch_scc1 .LBB5_1334
; %bb.1333:                             ;   in Loop: Header=BB5_1335 Depth=1
	s_sleep 1
	s_cbranch_execnz .LBB5_1335
	s_branch .LBB5_1337
.LBB5_1334:
	s_branch .LBB5_1337
.LBB5_1335:                             ; =>This Inner Loop Header: Depth=1
	v_mov_b32_e32 v0, 1
	s_and_saveexec_b64 s[16:17], s[4:5]
	s_cbranch_execz .LBB5_1332
; %bb.1336:                             ;   in Loop: Header=BB5_1335 Depth=1
	global_load_dword v0, v[10:11], off offset:20 glc
	s_waitcnt vmcnt(0)
	buffer_wbinvl1_vol
	v_and_b32_e32 v0, 1, v0
	s_branch .LBB5_1332
.LBB5_1337:
	global_load_dwordx2 v[6:7], v[12:13], off
	s_and_saveexec_b64 s[16:17], s[4:5]
	s_cbranch_execz .LBB5_1340
; %bb.1338:
	v_mov_b32_e32 v10, 0
	global_load_dwordx2 v[2:3], v10, s[36:37] offset:40
	global_load_dwordx2 v[11:12], v10, s[36:37] offset:24 glc
	global_load_dwordx2 v[8:9], v10, s[36:37]
	v_mov_b32_e32 v1, s11
	s_mov_b64 s[4:5], 0
	s_waitcnt vmcnt(2)
	v_add_co_u32_e32 v13, vcc, 1, v2
	v_addc_co_u32_e32 v14, vcc, 0, v3, vcc
	v_add_co_u32_e32 v0, vcc, s10, v13
	v_addc_co_u32_e32 v1, vcc, v14, v1, vcc
	v_cmp_eq_u64_e32 vcc, 0, v[0:1]
	v_cndmask_b32_e32 v1, v1, v14, vcc
	v_cndmask_b32_e32 v0, v0, v13, vcc
	v_and_b32_e32 v3, v1, v3
	v_and_b32_e32 v2, v0, v2
	v_mul_lo_u32 v3, v3, 24
	v_mul_hi_u32 v13, v2, 24
	v_mul_lo_u32 v14, v2, 24
	s_waitcnt vmcnt(1)
	v_mov_b32_e32 v2, v11
	v_add_u32_e32 v3, v13, v3
	s_waitcnt vmcnt(0)
	v_add_co_u32_e32 v8, vcc, v8, v14
	v_addc_co_u32_e32 v9, vcc, v9, v3, vcc
	global_store_dwordx2 v[8:9], v[11:12], off
	v_mov_b32_e32 v3, v12
	s_waitcnt vmcnt(0)
	global_atomic_cmpswap_x2 v[2:3], v10, v[0:3], s[36:37] offset:24 glc
	s_waitcnt vmcnt(0)
	v_cmp_ne_u64_e32 vcc, v[2:3], v[11:12]
	s_and_b64 exec, exec, vcc
	s_cbranch_execz .LBB5_1340
.LBB5_1339:                             ; =>This Inner Loop Header: Depth=1
	s_sleep 1
	global_store_dwordx2 v[8:9], v[2:3], off
	s_waitcnt vmcnt(0)
	global_atomic_cmpswap_x2 v[11:12], v10, v[0:3], s[36:37] offset:24 glc
	s_waitcnt vmcnt(0)
	v_cmp_eq_u64_e32 vcc, v[11:12], v[2:3]
	v_mov_b32_e32 v2, v11
	s_or_b64 s[4:5], vcc, s[4:5]
	v_mov_b32_e32 v3, v12
	s_andn2_b64 exec, exec, s[4:5]
	s_cbranch_execnz .LBB5_1339
.LBB5_1340:
	s_or_b64 exec, exec, s[16:17]
	s_and_b64 vcc, exec, s[6:7]
	s_cbranch_vccz .LBB5_1425
; %bb.1341:
	s_waitcnt vmcnt(0)
	v_and_b32_e32 v31, 2, v6
	v_mov_b32_e32 v28, 0
	v_and_b32_e32 v0, -3, v6
	v_mov_b32_e32 v1, v7
	s_mov_b64 s[10:11], 3
	v_mov_b32_e32 v10, 2
	v_mov_b32_e32 v11, 1
	s_getpc_b64 s[6:7]
	s_add_u32 s6, s6, .str.5@rel32@lo+4
	s_addc_u32 s7, s7, .str.5@rel32@hi+12
	s_branch .LBB5_1343
.LBB5_1342:                             ;   in Loop: Header=BB5_1343 Depth=1
	s_or_b64 exec, exec, s[20:21]
	s_sub_u32 s10, s10, s16
	s_subb_u32 s11, s11, s17
	s_add_u32 s6, s6, s16
	s_addc_u32 s7, s7, s17
	s_cmp_lg_u64 s[10:11], 0
	s_cbranch_scc0 .LBB5_1424
.LBB5_1343:                             ; =>This Loop Header: Depth=1
                                        ;     Child Loop BB5_1346 Depth 2
                                        ;     Child Loop BB5_1353 Depth 2
	;; [unrolled: 1-line block ×11, first 2 shown]
	v_cmp_lt_u64_e64 s[4:5], s[10:11], 56
	v_cmp_gt_u64_e64 s[18:19], s[10:11], 7
	s_and_b64 s[4:5], s[4:5], exec
	s_cselect_b32 s17, s11, 0
	s_cselect_b32 s16, s10, 56
	s_and_b64 vcc, exec, s[18:19]
	s_cbranch_vccnz .LBB5_1348
; %bb.1344:                             ;   in Loop: Header=BB5_1343 Depth=1
	s_waitcnt vmcnt(0)
	v_mov_b32_e32 v2, 0
	s_cmp_eq_u64 s[10:11], 0
	v_mov_b32_e32 v3, 0
	s_mov_b64 s[4:5], 0
	s_cbranch_scc1 .LBB5_1347
; %bb.1345:                             ;   in Loop: Header=BB5_1343 Depth=1
	v_mov_b32_e32 v2, 0
	s_lshl_b64 s[18:19], s[16:17], 3
	s_mov_b64 s[20:21], 0
	v_mov_b32_e32 v3, 0
	s_mov_b64 s[22:23], s[6:7]
.LBB5_1346:                             ;   Parent Loop BB5_1343 Depth=1
                                        ; =>  This Inner Loop Header: Depth=2
	global_load_ubyte v8, v28, s[22:23]
	s_waitcnt vmcnt(0)
	v_and_b32_e32 v27, 0xffff, v8
	v_lshlrev_b64 v[8:9], s20, v[27:28]
	s_add_u32 s20, s20, 8
	s_addc_u32 s21, s21, 0
	s_add_u32 s22, s22, 1
	s_addc_u32 s23, s23, 0
	v_or_b32_e32 v2, v8, v2
	s_cmp_lg_u32 s18, s20
	v_or_b32_e32 v3, v9, v3
	s_cbranch_scc1 .LBB5_1346
.LBB5_1347:                             ;   in Loop: Header=BB5_1343 Depth=1
	s_mov_b32 s15, 0
	s_andn2_b64 vcc, exec, s[4:5]
	s_mov_b64 s[4:5], s[6:7]
	s_cbranch_vccz .LBB5_1349
	s_branch .LBB5_1350
.LBB5_1348:                             ;   in Loop: Header=BB5_1343 Depth=1
                                        ; implicit-def: $vgpr2_vgpr3
                                        ; implicit-def: $sgpr15
	s_mov_b64 s[4:5], s[6:7]
.LBB5_1349:                             ;   in Loop: Header=BB5_1343 Depth=1
	global_load_dwordx2 v[2:3], v28, s[6:7]
	s_add_i32 s15, s16, -8
	s_add_u32 s4, s6, 8
	s_addc_u32 s5, s7, 0
.LBB5_1350:                             ;   in Loop: Header=BB5_1343 Depth=1
	s_cmp_gt_u32 s15, 7
	s_cbranch_scc1 .LBB5_1354
; %bb.1351:                             ;   in Loop: Header=BB5_1343 Depth=1
	s_cmp_eq_u32 s15, 0
	s_cbranch_scc1 .LBB5_1355
; %bb.1352:                             ;   in Loop: Header=BB5_1343 Depth=1
	v_mov_b32_e32 v12, 0
	s_mov_b64 s[18:19], 0
	v_mov_b32_e32 v13, 0
	s_mov_b64 s[20:21], 0
.LBB5_1353:                             ;   Parent Loop BB5_1343 Depth=1
                                        ; =>  This Inner Loop Header: Depth=2
	s_add_u32 s22, s4, s20
	s_addc_u32 s23, s5, s21
	global_load_ubyte v8, v28, s[22:23]
	s_add_u32 s20, s20, 1
	s_addc_u32 s21, s21, 0
	s_waitcnt vmcnt(0)
	v_and_b32_e32 v27, 0xffff, v8
	v_lshlrev_b64 v[8:9], s18, v[27:28]
	s_add_u32 s18, s18, 8
	s_addc_u32 s19, s19, 0
	v_or_b32_e32 v12, v8, v12
	s_cmp_lg_u32 s15, s20
	v_or_b32_e32 v13, v9, v13
	s_cbranch_scc1 .LBB5_1353
	s_branch .LBB5_1356
.LBB5_1354:                             ;   in Loop: Header=BB5_1343 Depth=1
                                        ; implicit-def: $vgpr12_vgpr13
                                        ; implicit-def: $sgpr22
	s_branch .LBB5_1357
.LBB5_1355:                             ;   in Loop: Header=BB5_1343 Depth=1
	v_mov_b32_e32 v12, 0
	v_mov_b32_e32 v13, 0
.LBB5_1356:                             ;   in Loop: Header=BB5_1343 Depth=1
	s_mov_b32 s22, 0
	s_cbranch_execnz .LBB5_1358
.LBB5_1357:                             ;   in Loop: Header=BB5_1343 Depth=1
	global_load_dwordx2 v[12:13], v28, s[4:5]
	s_add_i32 s22, s15, -8
	s_add_u32 s4, s4, 8
	s_addc_u32 s5, s5, 0
.LBB5_1358:                             ;   in Loop: Header=BB5_1343 Depth=1
	s_cmp_gt_u32 s22, 7
	s_cbranch_scc1 .LBB5_1362
; %bb.1359:                             ;   in Loop: Header=BB5_1343 Depth=1
	s_cmp_eq_u32 s22, 0
	s_cbranch_scc1 .LBB5_1363
; %bb.1360:                             ;   in Loop: Header=BB5_1343 Depth=1
	v_mov_b32_e32 v14, 0
	s_mov_b64 s[18:19], 0
	v_mov_b32_e32 v15, 0
	s_mov_b64 s[20:21], 0
.LBB5_1361:                             ;   Parent Loop BB5_1343 Depth=1
                                        ; =>  This Inner Loop Header: Depth=2
	s_add_u32 s24, s4, s20
	s_addc_u32 s25, s5, s21
	global_load_ubyte v8, v28, s[24:25]
	s_add_u32 s20, s20, 1
	s_addc_u32 s21, s21, 0
	s_waitcnt vmcnt(0)
	v_and_b32_e32 v27, 0xffff, v8
	v_lshlrev_b64 v[8:9], s18, v[27:28]
	s_add_u32 s18, s18, 8
	s_addc_u32 s19, s19, 0
	v_or_b32_e32 v14, v8, v14
	s_cmp_lg_u32 s22, s20
	v_or_b32_e32 v15, v9, v15
	s_cbranch_scc1 .LBB5_1361
	s_branch .LBB5_1364
.LBB5_1362:                             ;   in Loop: Header=BB5_1343 Depth=1
                                        ; implicit-def: $sgpr15
	s_branch .LBB5_1365
.LBB5_1363:                             ;   in Loop: Header=BB5_1343 Depth=1
	v_mov_b32_e32 v14, 0
	v_mov_b32_e32 v15, 0
.LBB5_1364:                             ;   in Loop: Header=BB5_1343 Depth=1
	s_mov_b32 s15, 0
	s_cbranch_execnz .LBB5_1366
.LBB5_1365:                             ;   in Loop: Header=BB5_1343 Depth=1
	global_load_dwordx2 v[14:15], v28, s[4:5]
	s_add_i32 s15, s22, -8
	s_add_u32 s4, s4, 8
	s_addc_u32 s5, s5, 0
.LBB5_1366:                             ;   in Loop: Header=BB5_1343 Depth=1
	s_cmp_gt_u32 s15, 7
	s_cbranch_scc1 .LBB5_1370
; %bb.1367:                             ;   in Loop: Header=BB5_1343 Depth=1
	s_cmp_eq_u32 s15, 0
	s_cbranch_scc1 .LBB5_1371
; %bb.1368:                             ;   in Loop: Header=BB5_1343 Depth=1
	v_mov_b32_e32 v16, 0
	s_mov_b64 s[18:19], 0
	v_mov_b32_e32 v17, 0
	s_mov_b64 s[20:21], 0
.LBB5_1369:                             ;   Parent Loop BB5_1343 Depth=1
                                        ; =>  This Inner Loop Header: Depth=2
	s_add_u32 s22, s4, s20
	s_addc_u32 s23, s5, s21
	global_load_ubyte v8, v28, s[22:23]
	s_add_u32 s20, s20, 1
	s_addc_u32 s21, s21, 0
	s_waitcnt vmcnt(0)
	v_and_b32_e32 v27, 0xffff, v8
	v_lshlrev_b64 v[8:9], s18, v[27:28]
	s_add_u32 s18, s18, 8
	s_addc_u32 s19, s19, 0
	v_or_b32_e32 v16, v8, v16
	s_cmp_lg_u32 s15, s20
	v_or_b32_e32 v17, v9, v17
	s_cbranch_scc1 .LBB5_1369
	s_branch .LBB5_1372
.LBB5_1370:                             ;   in Loop: Header=BB5_1343 Depth=1
                                        ; implicit-def: $vgpr16_vgpr17
                                        ; implicit-def: $sgpr22
	s_branch .LBB5_1373
.LBB5_1371:                             ;   in Loop: Header=BB5_1343 Depth=1
	v_mov_b32_e32 v16, 0
	v_mov_b32_e32 v17, 0
.LBB5_1372:                             ;   in Loop: Header=BB5_1343 Depth=1
	s_mov_b32 s22, 0
	s_cbranch_execnz .LBB5_1374
.LBB5_1373:                             ;   in Loop: Header=BB5_1343 Depth=1
	global_load_dwordx2 v[16:17], v28, s[4:5]
	s_add_i32 s22, s15, -8
	s_add_u32 s4, s4, 8
	s_addc_u32 s5, s5, 0
.LBB5_1374:                             ;   in Loop: Header=BB5_1343 Depth=1
	s_cmp_gt_u32 s22, 7
	s_cbranch_scc1 .LBB5_1378
; %bb.1375:                             ;   in Loop: Header=BB5_1343 Depth=1
	s_cmp_eq_u32 s22, 0
	s_cbranch_scc1 .LBB5_1379
; %bb.1376:                             ;   in Loop: Header=BB5_1343 Depth=1
	v_mov_b32_e32 v18, 0
	s_mov_b64 s[18:19], 0
	v_mov_b32_e32 v19, 0
	s_mov_b64 s[20:21], 0
.LBB5_1377:                             ;   Parent Loop BB5_1343 Depth=1
                                        ; =>  This Inner Loop Header: Depth=2
	s_add_u32 s24, s4, s20
	s_addc_u32 s25, s5, s21
	global_load_ubyte v8, v28, s[24:25]
	s_add_u32 s20, s20, 1
	s_addc_u32 s21, s21, 0
	s_waitcnt vmcnt(0)
	v_and_b32_e32 v27, 0xffff, v8
	v_lshlrev_b64 v[8:9], s18, v[27:28]
	s_add_u32 s18, s18, 8
	s_addc_u32 s19, s19, 0
	v_or_b32_e32 v18, v8, v18
	s_cmp_lg_u32 s22, s20
	v_or_b32_e32 v19, v9, v19
	s_cbranch_scc1 .LBB5_1377
	s_branch .LBB5_1380
.LBB5_1378:                             ;   in Loop: Header=BB5_1343 Depth=1
                                        ; implicit-def: $sgpr15
	s_branch .LBB5_1381
.LBB5_1379:                             ;   in Loop: Header=BB5_1343 Depth=1
	v_mov_b32_e32 v18, 0
	v_mov_b32_e32 v19, 0
.LBB5_1380:                             ;   in Loop: Header=BB5_1343 Depth=1
	s_mov_b32 s15, 0
	s_cbranch_execnz .LBB5_1382
.LBB5_1381:                             ;   in Loop: Header=BB5_1343 Depth=1
	global_load_dwordx2 v[18:19], v28, s[4:5]
	s_add_i32 s15, s22, -8
	s_add_u32 s4, s4, 8
	s_addc_u32 s5, s5, 0
.LBB5_1382:                             ;   in Loop: Header=BB5_1343 Depth=1
	s_cmp_gt_u32 s15, 7
	s_cbranch_scc1 .LBB5_1386
; %bb.1383:                             ;   in Loop: Header=BB5_1343 Depth=1
	s_cmp_eq_u32 s15, 0
	s_cbranch_scc1 .LBB5_1387
; %bb.1384:                             ;   in Loop: Header=BB5_1343 Depth=1
	v_mov_b32_e32 v20, 0
	s_mov_b64 s[18:19], 0
	v_mov_b32_e32 v21, 0
	s_mov_b64 s[20:21], 0
.LBB5_1385:                             ;   Parent Loop BB5_1343 Depth=1
                                        ; =>  This Inner Loop Header: Depth=2
	s_add_u32 s22, s4, s20
	s_addc_u32 s23, s5, s21
	global_load_ubyte v8, v28, s[22:23]
	s_add_u32 s20, s20, 1
	s_addc_u32 s21, s21, 0
	s_waitcnt vmcnt(0)
	v_and_b32_e32 v27, 0xffff, v8
	v_lshlrev_b64 v[8:9], s18, v[27:28]
	s_add_u32 s18, s18, 8
	s_addc_u32 s19, s19, 0
	v_or_b32_e32 v20, v8, v20
	s_cmp_lg_u32 s15, s20
	v_or_b32_e32 v21, v9, v21
	s_cbranch_scc1 .LBB5_1385
	s_branch .LBB5_1388
.LBB5_1386:                             ;   in Loop: Header=BB5_1343 Depth=1
                                        ; implicit-def: $vgpr20_vgpr21
                                        ; implicit-def: $sgpr22
	s_branch .LBB5_1389
.LBB5_1387:                             ;   in Loop: Header=BB5_1343 Depth=1
	v_mov_b32_e32 v20, 0
	v_mov_b32_e32 v21, 0
.LBB5_1388:                             ;   in Loop: Header=BB5_1343 Depth=1
	s_mov_b32 s22, 0
	s_cbranch_execnz .LBB5_1390
.LBB5_1389:                             ;   in Loop: Header=BB5_1343 Depth=1
	global_load_dwordx2 v[20:21], v28, s[4:5]
	s_add_i32 s22, s15, -8
	s_add_u32 s4, s4, 8
	s_addc_u32 s5, s5, 0
.LBB5_1390:                             ;   in Loop: Header=BB5_1343 Depth=1
	s_cmp_gt_u32 s22, 7
	s_cbranch_scc1 .LBB5_1394
; %bb.1391:                             ;   in Loop: Header=BB5_1343 Depth=1
	s_cmp_eq_u32 s22, 0
	s_cbranch_scc1 .LBB5_1395
; %bb.1392:                             ;   in Loop: Header=BB5_1343 Depth=1
	v_mov_b32_e32 v22, 0
	s_mov_b64 s[18:19], 0
	v_mov_b32_e32 v23, 0
	s_mov_b64 s[20:21], s[4:5]
.LBB5_1393:                             ;   Parent Loop BB5_1343 Depth=1
                                        ; =>  This Inner Loop Header: Depth=2
	global_load_ubyte v8, v28, s[20:21]
	s_add_i32 s22, s22, -1
	s_waitcnt vmcnt(0)
	v_and_b32_e32 v27, 0xffff, v8
	v_lshlrev_b64 v[8:9], s18, v[27:28]
	s_add_u32 s18, s18, 8
	s_addc_u32 s19, s19, 0
	s_add_u32 s20, s20, 1
	s_addc_u32 s21, s21, 0
	v_or_b32_e32 v22, v8, v22
	s_cmp_lg_u32 s22, 0
	v_or_b32_e32 v23, v9, v23
	s_cbranch_scc1 .LBB5_1393
	s_branch .LBB5_1396
.LBB5_1394:                             ;   in Loop: Header=BB5_1343 Depth=1
	s_branch .LBB5_1397
.LBB5_1395:                             ;   in Loop: Header=BB5_1343 Depth=1
	v_mov_b32_e32 v22, 0
	v_mov_b32_e32 v23, 0
.LBB5_1396:                             ;   in Loop: Header=BB5_1343 Depth=1
	s_cbranch_execnz .LBB5_1398
.LBB5_1397:                             ;   in Loop: Header=BB5_1343 Depth=1
	global_load_dwordx2 v[22:23], v28, s[4:5]
.LBB5_1398:                             ;   in Loop: Header=BB5_1343 Depth=1
	v_readfirstlane_b32 s4, v51
	v_mov_b32_e32 v8, 0
	v_mov_b32_e32 v9, 0
	v_cmp_eq_u32_e64 s[4:5], s4, v51
	s_and_saveexec_b64 s[18:19], s[4:5]
	s_cbranch_execz .LBB5_1404
; %bb.1399:                             ;   in Loop: Header=BB5_1343 Depth=1
	global_load_dwordx2 v[26:27], v28, s[36:37] offset:24 glc
	s_waitcnt vmcnt(0)
	buffer_wbinvl1_vol
	global_load_dwordx2 v[8:9], v28, s[36:37] offset:40
	global_load_dwordx2 v[24:25], v28, s[36:37]
	s_waitcnt vmcnt(1)
	v_and_b32_e32 v8, v8, v26
	v_and_b32_e32 v9, v9, v27
	v_mul_lo_u32 v9, v9, 24
	v_mul_hi_u32 v29, v8, 24
	v_mul_lo_u32 v8, v8, 24
	v_add_u32_e32 v9, v29, v9
	s_waitcnt vmcnt(0)
	v_add_co_u32_e32 v8, vcc, v24, v8
	v_addc_co_u32_e32 v9, vcc, v25, v9, vcc
	global_load_dwordx2 v[24:25], v[8:9], off glc
	s_waitcnt vmcnt(0)
	global_atomic_cmpswap_x2 v[8:9], v28, v[24:27], s[36:37] offset:24 glc
	s_waitcnt vmcnt(0)
	buffer_wbinvl1_vol
	v_cmp_ne_u64_e32 vcc, v[8:9], v[26:27]
	s_and_saveexec_b64 s[20:21], vcc
	s_cbranch_execz .LBB5_1403
; %bb.1400:                             ;   in Loop: Header=BB5_1343 Depth=1
	s_mov_b64 s[22:23], 0
.LBB5_1401:                             ;   Parent Loop BB5_1343 Depth=1
                                        ; =>  This Inner Loop Header: Depth=2
	s_sleep 1
	global_load_dwordx2 v[24:25], v28, s[36:37] offset:40
	global_load_dwordx2 v[29:30], v28, s[36:37]
	v_mov_b32_e32 v27, v9
	v_mov_b32_e32 v26, v8
	s_waitcnt vmcnt(1)
	v_and_b32_e32 v8, v24, v26
	s_waitcnt vmcnt(0)
	v_mad_u64_u32 v[8:9], s[24:25], v8, 24, v[29:30]
	v_and_b32_e32 v24, v25, v27
	v_mad_u64_u32 v[24:25], s[24:25], v24, 24, v[9:10]
	v_mov_b32_e32 v9, v24
	global_load_dwordx2 v[24:25], v[8:9], off glc
	s_waitcnt vmcnt(0)
	global_atomic_cmpswap_x2 v[8:9], v28, v[24:27], s[36:37] offset:24 glc
	s_waitcnt vmcnt(0)
	buffer_wbinvl1_vol
	v_cmp_eq_u64_e32 vcc, v[8:9], v[26:27]
	s_or_b64 s[22:23], vcc, s[22:23]
	s_andn2_b64 exec, exec, s[22:23]
	s_cbranch_execnz .LBB5_1401
; %bb.1402:                             ;   in Loop: Header=BB5_1343 Depth=1
	s_or_b64 exec, exec, s[22:23]
.LBB5_1403:                             ;   in Loop: Header=BB5_1343 Depth=1
	s_or_b64 exec, exec, s[20:21]
.LBB5_1404:                             ;   in Loop: Header=BB5_1343 Depth=1
	s_or_b64 exec, exec, s[18:19]
	global_load_dwordx2 v[29:30], v28, s[36:37] offset:40
	global_load_dwordx4 v[24:27], v28, s[36:37]
	v_readfirstlane_b32 s18, v8
	v_readfirstlane_b32 s19, v9
	s_mov_b64 s[20:21], exec
	s_waitcnt vmcnt(1)
	v_readfirstlane_b32 s22, v29
	v_readfirstlane_b32 s23, v30
	s_and_b64 s[22:23], s[18:19], s[22:23]
	s_mul_i32 s15, s23, 24
	s_mul_hi_u32 s24, s22, 24
	s_mul_i32 s25, s22, 24
	s_add_i32 s15, s24, s15
	v_mov_b32_e32 v8, s15
	s_waitcnt vmcnt(0)
	v_add_co_u32_e32 v29, vcc, s25, v24
	v_addc_co_u32_e32 v30, vcc, v25, v8, vcc
	s_and_saveexec_b64 s[24:25], s[4:5]
	s_cbranch_execz .LBB5_1406
; %bb.1405:                             ;   in Loop: Header=BB5_1343 Depth=1
	v_mov_b32_e32 v8, s20
	v_mov_b32_e32 v9, s21
	global_store_dwordx4 v[29:30], v[8:11], off offset:8
.LBB5_1406:                             ;   in Loop: Header=BB5_1343 Depth=1
	s_or_b64 exec, exec, s[24:25]
	s_lshl_b64 s[20:21], s[22:23], 12
	v_mov_b32_e32 v8, s21
	v_add_co_u32_e32 v26, vcc, s20, v26
	v_addc_co_u32_e32 v32, vcc, v27, v8, vcc
	v_cmp_gt_u64_e64 vcc, s[10:11], 56
	v_or_b32_e32 v9, v0, v31
	s_lshl_b32 s15, s16, 2
	v_cndmask_b32_e32 v0, v9, v0, vcc
	s_add_i32 s15, s15, 28
	v_or_b32_e32 v8, 0, v1
	s_and_b32 s15, s15, 0x1e0
	v_and_b32_e32 v0, 0xffffff1f, v0
	v_cndmask_b32_e32 v1, v8, v1, vcc
	v_or_b32_e32 v0, s15, v0
	v_readfirstlane_b32 s20, v26
	v_readfirstlane_b32 s21, v32
	s_nop 4
	global_store_dwordx4 v50, v[0:3], s[20:21]
	global_store_dwordx4 v50, v[12:15], s[20:21] offset:16
	global_store_dwordx4 v50, v[16:19], s[20:21] offset:32
	;; [unrolled: 1-line block ×3, first 2 shown]
	s_and_saveexec_b64 s[20:21], s[4:5]
	s_cbranch_execz .LBB5_1414
; %bb.1407:                             ;   in Loop: Header=BB5_1343 Depth=1
	global_load_dwordx2 v[14:15], v28, s[36:37] offset:32 glc
	global_load_dwordx2 v[0:1], v28, s[36:37] offset:40
	v_mov_b32_e32 v12, s18
	v_mov_b32_e32 v13, s19
	s_waitcnt vmcnt(0)
	v_readfirstlane_b32 s22, v0
	v_readfirstlane_b32 s23, v1
	s_and_b64 s[22:23], s[22:23], s[18:19]
	s_mul_i32 s15, s23, 24
	s_mul_hi_u32 s23, s22, 24
	s_mul_i32 s22, s22, 24
	s_add_i32 s15, s23, s15
	v_mov_b32_e32 v0, s15
	v_add_co_u32_e32 v8, vcc, s22, v24
	v_addc_co_u32_e32 v9, vcc, v25, v0, vcc
	global_store_dwordx2 v[8:9], v[14:15], off
	s_waitcnt vmcnt(0)
	global_atomic_cmpswap_x2 v[2:3], v28, v[12:15], s[36:37] offset:32 glc
	s_waitcnt vmcnt(0)
	v_cmp_ne_u64_e32 vcc, v[2:3], v[14:15]
	s_and_saveexec_b64 s[22:23], vcc
	s_cbranch_execz .LBB5_1410
; %bb.1408:                             ;   in Loop: Header=BB5_1343 Depth=1
	s_mov_b64 s[24:25], 0
.LBB5_1409:                             ;   Parent Loop BB5_1343 Depth=1
                                        ; =>  This Inner Loop Header: Depth=2
	s_sleep 1
	global_store_dwordx2 v[8:9], v[2:3], off
	v_mov_b32_e32 v0, s18
	v_mov_b32_e32 v1, s19
	s_waitcnt vmcnt(0)
	global_atomic_cmpswap_x2 v[0:1], v28, v[0:3], s[36:37] offset:32 glc
	s_waitcnt vmcnt(0)
	v_cmp_eq_u64_e32 vcc, v[0:1], v[2:3]
	v_mov_b32_e32 v3, v1
	s_or_b64 s[24:25], vcc, s[24:25]
	v_mov_b32_e32 v2, v0
	s_andn2_b64 exec, exec, s[24:25]
	s_cbranch_execnz .LBB5_1409
.LBB5_1410:                             ;   in Loop: Header=BB5_1343 Depth=1
	s_or_b64 exec, exec, s[22:23]
	global_load_dwordx2 v[0:1], v28, s[36:37] offset:16
	s_mov_b64 s[24:25], exec
	v_mbcnt_lo_u32_b32 v2, s24, 0
	v_mbcnt_hi_u32_b32 v2, s25, v2
	v_cmp_eq_u32_e32 vcc, 0, v2
	s_and_saveexec_b64 s[22:23], vcc
	s_cbranch_execz .LBB5_1412
; %bb.1411:                             ;   in Loop: Header=BB5_1343 Depth=1
	s_bcnt1_i32_b64 s15, s[24:25]
	v_mov_b32_e32 v27, s15
	s_waitcnt vmcnt(0)
	global_atomic_add_x2 v[0:1], v[27:28], off offset:8
.LBB5_1412:                             ;   in Loop: Header=BB5_1343 Depth=1
	s_or_b64 exec, exec, s[22:23]
	s_waitcnt vmcnt(0)
	global_load_dwordx2 v[2:3], v[0:1], off offset:16
	s_waitcnt vmcnt(0)
	v_cmp_eq_u64_e32 vcc, 0, v[2:3]
	s_cbranch_vccnz .LBB5_1414
; %bb.1413:                             ;   in Loop: Header=BB5_1343 Depth=1
	global_load_dword v27, v[0:1], off offset:24
	s_waitcnt vmcnt(0)
	v_and_b32_e32 v0, 0xffffff, v27
	v_readfirstlane_b32 m0, v0
	global_store_dwordx2 v[2:3], v[27:28], off
	s_sendmsg sendmsg(MSG_INTERRUPT)
.LBB5_1414:                             ;   in Loop: Header=BB5_1343 Depth=1
	s_or_b64 exec, exec, s[20:21]
	v_add_co_u32_e32 v0, vcc, v26, v50
	v_addc_co_u32_e32 v1, vcc, 0, v32, vcc
	s_branch .LBB5_1418
.LBB5_1415:                             ;   in Loop: Header=BB5_1418 Depth=2
	s_or_b64 exec, exec, s[20:21]
	v_readfirstlane_b32 s15, v2
	s_cmp_eq_u32 s15, 0
	s_cbranch_scc1 .LBB5_1417
; %bb.1416:                             ;   in Loop: Header=BB5_1418 Depth=2
	s_sleep 1
	s_cbranch_execnz .LBB5_1418
	s_branch .LBB5_1420
.LBB5_1417:                             ;   in Loop: Header=BB5_1343 Depth=1
	s_branch .LBB5_1420
.LBB5_1418:                             ;   Parent Loop BB5_1343 Depth=1
                                        ; =>  This Inner Loop Header: Depth=2
	v_mov_b32_e32 v2, 1
	s_and_saveexec_b64 s[20:21], s[4:5]
	s_cbranch_execz .LBB5_1415
; %bb.1419:                             ;   in Loop: Header=BB5_1418 Depth=2
	global_load_dword v2, v[29:30], off offset:20 glc
	s_waitcnt vmcnt(0)
	buffer_wbinvl1_vol
	v_and_b32_e32 v2, 1, v2
	s_branch .LBB5_1415
.LBB5_1420:                             ;   in Loop: Header=BB5_1343 Depth=1
	global_load_dwordx4 v[0:3], v[0:1], off
	s_and_saveexec_b64 s[20:21], s[4:5]
	s_cbranch_execz .LBB5_1342
; %bb.1421:                             ;   in Loop: Header=BB5_1343 Depth=1
	global_load_dwordx2 v[2:3], v28, s[36:37] offset:40
	global_load_dwordx2 v[8:9], v28, s[36:37] offset:24 glc
	global_load_dwordx2 v[15:16], v28, s[36:37]
	v_mov_b32_e32 v13, s19
	s_waitcnt vmcnt(2)
	v_add_co_u32_e32 v14, vcc, 1, v2
	v_addc_co_u32_e32 v17, vcc, 0, v3, vcc
	v_add_co_u32_e32 v12, vcc, s18, v14
	v_addc_co_u32_e32 v13, vcc, v17, v13, vcc
	v_cmp_eq_u64_e32 vcc, 0, v[12:13]
	v_cndmask_b32_e32 v13, v13, v17, vcc
	v_cndmask_b32_e32 v12, v12, v14, vcc
	v_and_b32_e32 v3, v13, v3
	v_and_b32_e32 v2, v12, v2
	v_mul_lo_u32 v3, v3, 24
	v_mul_hi_u32 v17, v2, 24
	v_mul_lo_u32 v2, v2, 24
	s_waitcnt vmcnt(1)
	v_mov_b32_e32 v14, v8
	v_add_u32_e32 v3, v17, v3
	s_waitcnt vmcnt(0)
	v_add_co_u32_e32 v2, vcc, v15, v2
	v_addc_co_u32_e32 v3, vcc, v16, v3, vcc
	global_store_dwordx2 v[2:3], v[8:9], off
	v_mov_b32_e32 v15, v9
	s_waitcnt vmcnt(0)
	global_atomic_cmpswap_x2 v[14:15], v28, v[12:15], s[36:37] offset:24 glc
	s_waitcnt vmcnt(0)
	v_cmp_ne_u64_e32 vcc, v[14:15], v[8:9]
	s_and_b64 exec, exec, vcc
	s_cbranch_execz .LBB5_1342
; %bb.1422:                             ;   in Loop: Header=BB5_1343 Depth=1
	s_mov_b64 s[4:5], 0
.LBB5_1423:                             ;   Parent Loop BB5_1343 Depth=1
                                        ; =>  This Inner Loop Header: Depth=2
	s_sleep 1
	global_store_dwordx2 v[2:3], v[14:15], off
	s_waitcnt vmcnt(0)
	global_atomic_cmpswap_x2 v[8:9], v28, v[12:15], s[36:37] offset:24 glc
	s_waitcnt vmcnt(0)
	v_cmp_eq_u64_e32 vcc, v[8:9], v[14:15]
	v_mov_b32_e32 v15, v9
	s_or_b64 s[4:5], vcc, s[4:5]
	v_mov_b32_e32 v14, v8
	s_andn2_b64 exec, exec, s[4:5]
	s_cbranch_execnz .LBB5_1423
	s_branch .LBB5_1342
.LBB5_1424:
	s_branch .LBB5_1452
.LBB5_1425:
                                        ; implicit-def: $vgpr0_vgpr1
	s_cbranch_execz .LBB5_1452
; %bb.1426:
	v_readfirstlane_b32 s4, v51
	v_mov_b32_e32 v9, 0
	v_mov_b32_e32 v10, 0
	v_cmp_eq_u32_e64 s[4:5], s4, v51
	s_and_saveexec_b64 s[6:7], s[4:5]
	s_cbranch_execz .LBB5_1432
; %bb.1427:
	s_waitcnt vmcnt(0)
	v_mov_b32_e32 v0, 0
	global_load_dwordx2 v[11:12], v0, s[36:37] offset:24 glc
	s_waitcnt vmcnt(0)
	buffer_wbinvl1_vol
	global_load_dwordx2 v[1:2], v0, s[36:37] offset:40
	global_load_dwordx2 v[8:9], v0, s[36:37]
	s_waitcnt vmcnt(1)
	v_and_b32_e32 v1, v1, v11
	v_and_b32_e32 v2, v2, v12
	v_mul_lo_u32 v2, v2, 24
	v_mul_hi_u32 v3, v1, 24
	v_mul_lo_u32 v1, v1, 24
	v_add_u32_e32 v2, v3, v2
	s_waitcnt vmcnt(0)
	v_add_co_u32_e32 v1, vcc, v8, v1
	v_addc_co_u32_e32 v2, vcc, v9, v2, vcc
	global_load_dwordx2 v[9:10], v[1:2], off glc
	s_waitcnt vmcnt(0)
	global_atomic_cmpswap_x2 v[9:10], v0, v[9:12], s[36:37] offset:24 glc
	s_waitcnt vmcnt(0)
	buffer_wbinvl1_vol
	v_cmp_ne_u64_e32 vcc, v[9:10], v[11:12]
	s_and_saveexec_b64 s[10:11], vcc
	s_cbranch_execz .LBB5_1431
; %bb.1428:
	s_mov_b64 s[16:17], 0
.LBB5_1429:                             ; =>This Inner Loop Header: Depth=1
	s_sleep 1
	global_load_dwordx2 v[1:2], v0, s[36:37] offset:40
	global_load_dwordx2 v[13:14], v0, s[36:37]
	v_mov_b32_e32 v12, v10
	v_mov_b32_e32 v11, v9
	s_waitcnt vmcnt(1)
	v_and_b32_e32 v1, v1, v11
	s_waitcnt vmcnt(0)
	v_mad_u64_u32 v[8:9], s[18:19], v1, 24, v[13:14]
	v_and_b32_e32 v2, v2, v12
	v_mov_b32_e32 v1, v9
	v_mad_u64_u32 v[1:2], s[18:19], v2, 24, v[1:2]
	v_mov_b32_e32 v9, v1
	global_load_dwordx2 v[9:10], v[8:9], off glc
	s_waitcnt vmcnt(0)
	global_atomic_cmpswap_x2 v[9:10], v0, v[9:12], s[36:37] offset:24 glc
	s_waitcnt vmcnt(0)
	buffer_wbinvl1_vol
	v_cmp_eq_u64_e32 vcc, v[9:10], v[11:12]
	s_or_b64 s[16:17], vcc, s[16:17]
	s_andn2_b64 exec, exec, s[16:17]
	s_cbranch_execnz .LBB5_1429
; %bb.1430:
	s_or_b64 exec, exec, s[16:17]
.LBB5_1431:
	s_or_b64 exec, exec, s[10:11]
.LBB5_1432:
	s_or_b64 exec, exec, s[6:7]
	v_mov_b32_e32 v8, 0
	global_load_dwordx2 v[11:12], v8, s[36:37] offset:40
	global_load_dwordx4 v[0:3], v8, s[36:37]
	v_readfirstlane_b32 s6, v9
	v_readfirstlane_b32 s7, v10
	s_mov_b64 s[10:11], exec
	s_waitcnt vmcnt(1)
	v_readfirstlane_b32 s16, v11
	v_readfirstlane_b32 s17, v12
	s_and_b64 s[16:17], s[6:7], s[16:17]
	s_mul_i32 s15, s17, 24
	s_mul_hi_u32 s18, s16, 24
	s_mul_i32 s19, s16, 24
	s_add_i32 s15, s18, s15
	v_mov_b32_e32 v9, s15
	s_waitcnt vmcnt(0)
	v_add_co_u32_e32 v10, vcc, s19, v0
	v_addc_co_u32_e32 v11, vcc, v1, v9, vcc
	s_and_saveexec_b64 s[18:19], s[4:5]
	s_cbranch_execz .LBB5_1434
; %bb.1433:
	v_mov_b32_e32 v13, s11
	v_mov_b32_e32 v12, s10
	;; [unrolled: 1-line block ×4, first 2 shown]
	global_store_dwordx4 v[10:11], v[12:15], off offset:8
.LBB5_1434:
	s_or_b64 exec, exec, s[18:19]
	s_lshl_b64 s[10:11], s[16:17], 12
	v_mov_b32_e32 v9, s11
	v_add_co_u32_e32 v2, vcc, s10, v2
	v_addc_co_u32_e32 v3, vcc, v3, v9, vcc
	s_movk_i32 s10, 0xff1f
	v_and_or_b32 v6, v6, s10, 32
	s_mov_b32 s16, 0
	v_mov_b32_e32 v9, v8
	v_readfirstlane_b32 s10, v2
	v_readfirstlane_b32 s11, v3
	v_add_co_u32_e32 v12, vcc, v2, v50
	s_mov_b32 s17, s16
	s_mov_b32 s18, s16
	;; [unrolled: 1-line block ×3, first 2 shown]
	s_nop 0
	global_store_dwordx4 v50, v[6:9], s[10:11]
	v_addc_co_u32_e32 v13, vcc, 0, v3, vcc
	v_mov_b32_e32 v6, s16
	v_mov_b32_e32 v7, s17
	;; [unrolled: 1-line block ×4, first 2 shown]
	global_store_dwordx4 v50, v[6:9], s[10:11] offset:16
	global_store_dwordx4 v50, v[6:9], s[10:11] offset:32
	;; [unrolled: 1-line block ×3, first 2 shown]
	s_and_saveexec_b64 s[10:11], s[4:5]
	s_cbranch_execz .LBB5_1442
; %bb.1435:
	v_mov_b32_e32 v8, 0
	global_load_dwordx2 v[16:17], v8, s[36:37] offset:32 glc
	global_load_dwordx2 v[2:3], v8, s[36:37] offset:40
	v_mov_b32_e32 v14, s6
	v_mov_b32_e32 v15, s7
	s_waitcnt vmcnt(0)
	v_readfirstlane_b32 s16, v2
	v_readfirstlane_b32 s17, v3
	s_and_b64 s[16:17], s[16:17], s[6:7]
	s_mul_i32 s15, s17, 24
	s_mul_hi_u32 s17, s16, 24
	s_mul_i32 s16, s16, 24
	s_add_i32 s15, s17, s15
	v_mov_b32_e32 v2, s15
	v_add_co_u32_e32 v6, vcc, s16, v0
	v_addc_co_u32_e32 v7, vcc, v1, v2, vcc
	global_store_dwordx2 v[6:7], v[16:17], off
	s_waitcnt vmcnt(0)
	global_atomic_cmpswap_x2 v[2:3], v8, v[14:17], s[36:37] offset:32 glc
	s_waitcnt vmcnt(0)
	v_cmp_ne_u64_e32 vcc, v[2:3], v[16:17]
	s_and_saveexec_b64 s[16:17], vcc
	s_cbranch_execz .LBB5_1438
; %bb.1436:
	s_mov_b64 s[18:19], 0
.LBB5_1437:                             ; =>This Inner Loop Header: Depth=1
	s_sleep 1
	global_store_dwordx2 v[6:7], v[2:3], off
	v_mov_b32_e32 v0, s6
	v_mov_b32_e32 v1, s7
	s_waitcnt vmcnt(0)
	global_atomic_cmpswap_x2 v[0:1], v8, v[0:3], s[36:37] offset:32 glc
	s_waitcnt vmcnt(0)
	v_cmp_eq_u64_e32 vcc, v[0:1], v[2:3]
	v_mov_b32_e32 v3, v1
	s_or_b64 s[18:19], vcc, s[18:19]
	v_mov_b32_e32 v2, v0
	s_andn2_b64 exec, exec, s[18:19]
	s_cbranch_execnz .LBB5_1437
.LBB5_1438:
	s_or_b64 exec, exec, s[16:17]
	v_mov_b32_e32 v3, 0
	global_load_dwordx2 v[0:1], v3, s[36:37] offset:16
	s_mov_b64 s[16:17], exec
	v_mbcnt_lo_u32_b32 v2, s16, 0
	v_mbcnt_hi_u32_b32 v2, s17, v2
	v_cmp_eq_u32_e32 vcc, 0, v2
	s_and_saveexec_b64 s[18:19], vcc
	s_cbranch_execz .LBB5_1440
; %bb.1439:
	s_bcnt1_i32_b64 s15, s[16:17]
	v_mov_b32_e32 v2, s15
	s_waitcnt vmcnt(0)
	global_atomic_add_x2 v[0:1], v[2:3], off offset:8
.LBB5_1440:
	s_or_b64 exec, exec, s[18:19]
	s_waitcnt vmcnt(0)
	global_load_dwordx2 v[2:3], v[0:1], off offset:16
	s_waitcnt vmcnt(0)
	v_cmp_eq_u64_e32 vcc, 0, v[2:3]
	s_cbranch_vccnz .LBB5_1442
; %bb.1441:
	global_load_dword v0, v[0:1], off offset:24
	v_mov_b32_e32 v1, 0
	s_waitcnt vmcnt(0)
	global_store_dwordx2 v[2:3], v[0:1], off
	v_and_b32_e32 v0, 0xffffff, v0
	v_readfirstlane_b32 m0, v0
	s_sendmsg sendmsg(MSG_INTERRUPT)
.LBB5_1442:
	s_or_b64 exec, exec, s[10:11]
	s_branch .LBB5_1446
.LBB5_1443:                             ;   in Loop: Header=BB5_1446 Depth=1
	s_or_b64 exec, exec, s[10:11]
	v_readfirstlane_b32 s10, v0
	s_cmp_eq_u32 s10, 0
	s_cbranch_scc1 .LBB5_1445
; %bb.1444:                             ;   in Loop: Header=BB5_1446 Depth=1
	s_sleep 1
	s_cbranch_execnz .LBB5_1446
	s_branch .LBB5_1448
.LBB5_1445:
	s_branch .LBB5_1448
.LBB5_1446:                             ; =>This Inner Loop Header: Depth=1
	v_mov_b32_e32 v0, 1
	s_and_saveexec_b64 s[10:11], s[4:5]
	s_cbranch_execz .LBB5_1443
; %bb.1447:                             ;   in Loop: Header=BB5_1446 Depth=1
	global_load_dword v0, v[10:11], off offset:20 glc
	s_waitcnt vmcnt(0)
	buffer_wbinvl1_vol
	v_and_b32_e32 v0, 1, v0
	s_branch .LBB5_1443
.LBB5_1448:
	global_load_dwordx2 v[0:1], v[12:13], off
	s_and_saveexec_b64 s[10:11], s[4:5]
	s_cbranch_execz .LBB5_1451
; %bb.1449:
	v_mov_b32_e32 v10, 0
	global_load_dwordx2 v[2:3], v10, s[36:37] offset:40
	global_load_dwordx2 v[11:12], v10, s[36:37] offset:24 glc
	global_load_dwordx2 v[13:14], v10, s[36:37]
	v_mov_b32_e32 v7, s7
	s_mov_b64 s[4:5], 0
	s_waitcnt vmcnt(2)
	v_add_co_u32_e32 v8, vcc, 1, v2
	v_addc_co_u32_e32 v9, vcc, 0, v3, vcc
	v_add_co_u32_e32 v6, vcc, s6, v8
	v_addc_co_u32_e32 v7, vcc, v9, v7, vcc
	v_cmp_eq_u64_e32 vcc, 0, v[6:7]
	v_cndmask_b32_e32 v7, v7, v9, vcc
	v_cndmask_b32_e32 v6, v6, v8, vcc
	v_and_b32_e32 v3, v7, v3
	v_and_b32_e32 v2, v6, v2
	v_mul_lo_u32 v3, v3, 24
	v_mul_hi_u32 v9, v2, 24
	v_mul_lo_u32 v2, v2, 24
	s_waitcnt vmcnt(1)
	v_mov_b32_e32 v8, v11
	v_add_u32_e32 v3, v9, v3
	s_waitcnt vmcnt(0)
	v_add_co_u32_e32 v2, vcc, v13, v2
	v_addc_co_u32_e32 v3, vcc, v14, v3, vcc
	global_store_dwordx2 v[2:3], v[11:12], off
	v_mov_b32_e32 v9, v12
	s_waitcnt vmcnt(0)
	global_atomic_cmpswap_x2 v[8:9], v10, v[6:9], s[36:37] offset:24 glc
	s_waitcnt vmcnt(0)
	v_cmp_ne_u64_e32 vcc, v[8:9], v[11:12]
	s_and_b64 exec, exec, vcc
	s_cbranch_execz .LBB5_1451
.LBB5_1450:                             ; =>This Inner Loop Header: Depth=1
	s_sleep 1
	global_store_dwordx2 v[2:3], v[8:9], off
	s_waitcnt vmcnt(0)
	global_atomic_cmpswap_x2 v[11:12], v10, v[6:9], s[36:37] offset:24 glc
	s_waitcnt vmcnt(0)
	v_cmp_eq_u64_e32 vcc, v[11:12], v[8:9]
	v_mov_b32_e32 v8, v11
	s_or_b64 s[4:5], vcc, s[4:5]
	v_mov_b32_e32 v9, v12
	s_andn2_b64 exec, exec, s[4:5]
	s_cbranch_execnz .LBB5_1450
.LBB5_1451:
	s_or_b64 exec, exec, s[10:11]
.LBB5_1452:
	s_getpc_b64 s[6:7]
	s_add_u32 s6, s6, .str.2@rel32@lo+4
	s_addc_u32 s7, s7, .str.2@rel32@hi+12
	s_cmp_lg_u64 s[6:7], 0
	s_cbranch_scc0 .LBB5_1537
; %bb.1453:
	s_waitcnt vmcnt(0)
	v_and_b32_e32 v10, -3, v0
	v_mov_b32_e32 v11, v1
	s_mov_b64 s[10:11], 13
	v_mov_b32_e32 v3, 0
	v_mov_b32_e32 v8, 2
	;; [unrolled: 1-line block ×3, first 2 shown]
	s_branch .LBB5_1455
.LBB5_1454:                             ;   in Loop: Header=BB5_1455 Depth=1
	s_or_b64 exec, exec, s[20:21]
	s_sub_u32 s10, s10, s16
	s_subb_u32 s11, s11, s17
	s_add_u32 s6, s6, s16
	s_addc_u32 s7, s7, s17
	s_cmp_lg_u64 s[10:11], 0
	s_cbranch_scc0 .LBB5_1536
.LBB5_1455:                             ; =>This Loop Header: Depth=1
                                        ;     Child Loop BB5_1458 Depth 2
                                        ;     Child Loop BB5_1465 Depth 2
	;; [unrolled: 1-line block ×11, first 2 shown]
	v_cmp_lt_u64_e64 s[4:5], s[10:11], 56
	v_cmp_gt_u64_e64 s[18:19], s[10:11], 7
	s_and_b64 s[4:5], s[4:5], exec
	s_cselect_b32 s17, s11, 0
	s_cselect_b32 s16, s10, 56
	s_and_b64 vcc, exec, s[18:19]
	s_cbranch_vccnz .LBB5_1460
; %bb.1456:                             ;   in Loop: Header=BB5_1455 Depth=1
	s_waitcnt vmcnt(0)
	v_mov_b32_e32 v12, 0
	s_cmp_eq_u64 s[10:11], 0
	v_mov_b32_e32 v13, 0
	s_mov_b64 s[4:5], 0
	s_cbranch_scc1 .LBB5_1459
; %bb.1457:                             ;   in Loop: Header=BB5_1455 Depth=1
	v_mov_b32_e32 v12, 0
	s_lshl_b64 s[18:19], s[16:17], 3
	s_mov_b64 s[20:21], 0
	v_mov_b32_e32 v13, 0
	s_mov_b64 s[22:23], s[6:7]
.LBB5_1458:                             ;   Parent Loop BB5_1455 Depth=1
                                        ; =>  This Inner Loop Header: Depth=2
	global_load_ubyte v2, v3, s[22:23]
	s_waitcnt vmcnt(0)
	v_and_b32_e32 v2, 0xffff, v2
	v_lshlrev_b64 v[6:7], s20, v[2:3]
	s_add_u32 s20, s20, 8
	s_addc_u32 s21, s21, 0
	s_add_u32 s22, s22, 1
	s_addc_u32 s23, s23, 0
	v_or_b32_e32 v12, v6, v12
	s_cmp_lg_u32 s18, s20
	v_or_b32_e32 v13, v7, v13
	s_cbranch_scc1 .LBB5_1458
.LBB5_1459:                             ;   in Loop: Header=BB5_1455 Depth=1
	s_mov_b32 s15, 0
	s_andn2_b64 vcc, exec, s[4:5]
	s_mov_b64 s[4:5], s[6:7]
	s_cbranch_vccz .LBB5_1461
	s_branch .LBB5_1462
.LBB5_1460:                             ;   in Loop: Header=BB5_1455 Depth=1
                                        ; implicit-def: $sgpr15
	s_mov_b64 s[4:5], s[6:7]
.LBB5_1461:                             ;   in Loop: Header=BB5_1455 Depth=1
	global_load_dwordx2 v[12:13], v3, s[6:7]
	s_add_i32 s15, s16, -8
	s_add_u32 s4, s6, 8
	s_addc_u32 s5, s7, 0
.LBB5_1462:                             ;   in Loop: Header=BB5_1455 Depth=1
	s_cmp_gt_u32 s15, 7
	s_cbranch_scc1 .LBB5_1466
; %bb.1463:                             ;   in Loop: Header=BB5_1455 Depth=1
	s_cmp_eq_u32 s15, 0
	s_cbranch_scc1 .LBB5_1467
; %bb.1464:                             ;   in Loop: Header=BB5_1455 Depth=1
	v_mov_b32_e32 v14, 0
	s_mov_b64 s[18:19], 0
	v_mov_b32_e32 v15, 0
	s_mov_b64 s[20:21], 0
.LBB5_1465:                             ;   Parent Loop BB5_1455 Depth=1
                                        ; =>  This Inner Loop Header: Depth=2
	s_add_u32 s22, s4, s20
	s_addc_u32 s23, s5, s21
	global_load_ubyte v2, v3, s[22:23]
	s_add_u32 s20, s20, 1
	s_addc_u32 s21, s21, 0
	s_waitcnt vmcnt(0)
	v_and_b32_e32 v2, 0xffff, v2
	v_lshlrev_b64 v[6:7], s18, v[2:3]
	s_add_u32 s18, s18, 8
	s_addc_u32 s19, s19, 0
	v_or_b32_e32 v14, v6, v14
	s_cmp_lg_u32 s15, s20
	v_or_b32_e32 v15, v7, v15
	s_cbranch_scc1 .LBB5_1465
	s_branch .LBB5_1468
.LBB5_1466:                             ;   in Loop: Header=BB5_1455 Depth=1
                                        ; implicit-def: $vgpr14_vgpr15
                                        ; implicit-def: $sgpr22
	s_branch .LBB5_1469
.LBB5_1467:                             ;   in Loop: Header=BB5_1455 Depth=1
	v_mov_b32_e32 v14, 0
	v_mov_b32_e32 v15, 0
.LBB5_1468:                             ;   in Loop: Header=BB5_1455 Depth=1
	s_mov_b32 s22, 0
	s_cbranch_execnz .LBB5_1470
.LBB5_1469:                             ;   in Loop: Header=BB5_1455 Depth=1
	global_load_dwordx2 v[14:15], v3, s[4:5]
	s_add_i32 s22, s15, -8
	s_add_u32 s4, s4, 8
	s_addc_u32 s5, s5, 0
.LBB5_1470:                             ;   in Loop: Header=BB5_1455 Depth=1
	s_cmp_gt_u32 s22, 7
	s_cbranch_scc1 .LBB5_1474
; %bb.1471:                             ;   in Loop: Header=BB5_1455 Depth=1
	s_cmp_eq_u32 s22, 0
	s_cbranch_scc1 .LBB5_1475
; %bb.1472:                             ;   in Loop: Header=BB5_1455 Depth=1
	v_mov_b32_e32 v16, 0
	s_mov_b64 s[18:19], 0
	v_mov_b32_e32 v17, 0
	s_mov_b64 s[20:21], 0
.LBB5_1473:                             ;   Parent Loop BB5_1455 Depth=1
                                        ; =>  This Inner Loop Header: Depth=2
	s_add_u32 s24, s4, s20
	s_addc_u32 s25, s5, s21
	global_load_ubyte v2, v3, s[24:25]
	s_add_u32 s20, s20, 1
	s_addc_u32 s21, s21, 0
	s_waitcnt vmcnt(0)
	v_and_b32_e32 v2, 0xffff, v2
	v_lshlrev_b64 v[6:7], s18, v[2:3]
	s_add_u32 s18, s18, 8
	s_addc_u32 s19, s19, 0
	v_or_b32_e32 v16, v6, v16
	s_cmp_lg_u32 s22, s20
	v_or_b32_e32 v17, v7, v17
	s_cbranch_scc1 .LBB5_1473
	s_branch .LBB5_1476
.LBB5_1474:                             ;   in Loop: Header=BB5_1455 Depth=1
                                        ; implicit-def: $sgpr15
	s_branch .LBB5_1477
.LBB5_1475:                             ;   in Loop: Header=BB5_1455 Depth=1
	v_mov_b32_e32 v16, 0
	v_mov_b32_e32 v17, 0
.LBB5_1476:                             ;   in Loop: Header=BB5_1455 Depth=1
	s_mov_b32 s15, 0
	s_cbranch_execnz .LBB5_1478
.LBB5_1477:                             ;   in Loop: Header=BB5_1455 Depth=1
	global_load_dwordx2 v[16:17], v3, s[4:5]
	s_add_i32 s15, s22, -8
	s_add_u32 s4, s4, 8
	s_addc_u32 s5, s5, 0
.LBB5_1478:                             ;   in Loop: Header=BB5_1455 Depth=1
	s_cmp_gt_u32 s15, 7
	s_cbranch_scc1 .LBB5_1482
; %bb.1479:                             ;   in Loop: Header=BB5_1455 Depth=1
	s_cmp_eq_u32 s15, 0
	s_cbranch_scc1 .LBB5_1483
; %bb.1480:                             ;   in Loop: Header=BB5_1455 Depth=1
	v_mov_b32_e32 v18, 0
	s_mov_b64 s[18:19], 0
	v_mov_b32_e32 v19, 0
	s_mov_b64 s[20:21], 0
.LBB5_1481:                             ;   Parent Loop BB5_1455 Depth=1
                                        ; =>  This Inner Loop Header: Depth=2
	s_add_u32 s22, s4, s20
	s_addc_u32 s23, s5, s21
	global_load_ubyte v2, v3, s[22:23]
	s_add_u32 s20, s20, 1
	s_addc_u32 s21, s21, 0
	s_waitcnt vmcnt(0)
	v_and_b32_e32 v2, 0xffff, v2
	v_lshlrev_b64 v[6:7], s18, v[2:3]
	s_add_u32 s18, s18, 8
	s_addc_u32 s19, s19, 0
	v_or_b32_e32 v18, v6, v18
	s_cmp_lg_u32 s15, s20
	v_or_b32_e32 v19, v7, v19
	s_cbranch_scc1 .LBB5_1481
	s_branch .LBB5_1484
.LBB5_1482:                             ;   in Loop: Header=BB5_1455 Depth=1
                                        ; implicit-def: $vgpr18_vgpr19
                                        ; implicit-def: $sgpr22
	s_branch .LBB5_1485
.LBB5_1483:                             ;   in Loop: Header=BB5_1455 Depth=1
	v_mov_b32_e32 v18, 0
	v_mov_b32_e32 v19, 0
.LBB5_1484:                             ;   in Loop: Header=BB5_1455 Depth=1
	s_mov_b32 s22, 0
	s_cbranch_execnz .LBB5_1486
.LBB5_1485:                             ;   in Loop: Header=BB5_1455 Depth=1
	global_load_dwordx2 v[18:19], v3, s[4:5]
	s_add_i32 s22, s15, -8
	s_add_u32 s4, s4, 8
	s_addc_u32 s5, s5, 0
.LBB5_1486:                             ;   in Loop: Header=BB5_1455 Depth=1
	s_cmp_gt_u32 s22, 7
	s_cbranch_scc1 .LBB5_1490
; %bb.1487:                             ;   in Loop: Header=BB5_1455 Depth=1
	s_cmp_eq_u32 s22, 0
	s_cbranch_scc1 .LBB5_1491
; %bb.1488:                             ;   in Loop: Header=BB5_1455 Depth=1
	v_mov_b32_e32 v20, 0
	s_mov_b64 s[18:19], 0
	v_mov_b32_e32 v21, 0
	s_mov_b64 s[20:21], 0
.LBB5_1489:                             ;   Parent Loop BB5_1455 Depth=1
                                        ; =>  This Inner Loop Header: Depth=2
	s_add_u32 s24, s4, s20
	s_addc_u32 s25, s5, s21
	global_load_ubyte v2, v3, s[24:25]
	s_add_u32 s20, s20, 1
	s_addc_u32 s21, s21, 0
	s_waitcnt vmcnt(0)
	v_and_b32_e32 v2, 0xffff, v2
	v_lshlrev_b64 v[6:7], s18, v[2:3]
	s_add_u32 s18, s18, 8
	s_addc_u32 s19, s19, 0
	v_or_b32_e32 v20, v6, v20
	s_cmp_lg_u32 s22, s20
	v_or_b32_e32 v21, v7, v21
	s_cbranch_scc1 .LBB5_1489
	s_branch .LBB5_1492
.LBB5_1490:                             ;   in Loop: Header=BB5_1455 Depth=1
                                        ; implicit-def: $sgpr15
	s_branch .LBB5_1493
.LBB5_1491:                             ;   in Loop: Header=BB5_1455 Depth=1
	v_mov_b32_e32 v20, 0
	v_mov_b32_e32 v21, 0
.LBB5_1492:                             ;   in Loop: Header=BB5_1455 Depth=1
	s_mov_b32 s15, 0
	s_cbranch_execnz .LBB5_1494
.LBB5_1493:                             ;   in Loop: Header=BB5_1455 Depth=1
	global_load_dwordx2 v[20:21], v3, s[4:5]
	s_add_i32 s15, s22, -8
	s_add_u32 s4, s4, 8
	s_addc_u32 s5, s5, 0
.LBB5_1494:                             ;   in Loop: Header=BB5_1455 Depth=1
	s_cmp_gt_u32 s15, 7
	s_cbranch_scc1 .LBB5_1498
; %bb.1495:                             ;   in Loop: Header=BB5_1455 Depth=1
	s_cmp_eq_u32 s15, 0
	s_cbranch_scc1 .LBB5_1499
; %bb.1496:                             ;   in Loop: Header=BB5_1455 Depth=1
	v_mov_b32_e32 v22, 0
	s_mov_b64 s[18:19], 0
	v_mov_b32_e32 v23, 0
	s_mov_b64 s[20:21], 0
.LBB5_1497:                             ;   Parent Loop BB5_1455 Depth=1
                                        ; =>  This Inner Loop Header: Depth=2
	s_add_u32 s22, s4, s20
	s_addc_u32 s23, s5, s21
	global_load_ubyte v2, v3, s[22:23]
	s_add_u32 s20, s20, 1
	s_addc_u32 s21, s21, 0
	s_waitcnt vmcnt(0)
	v_and_b32_e32 v2, 0xffff, v2
	v_lshlrev_b64 v[6:7], s18, v[2:3]
	s_add_u32 s18, s18, 8
	s_addc_u32 s19, s19, 0
	v_or_b32_e32 v22, v6, v22
	s_cmp_lg_u32 s15, s20
	v_or_b32_e32 v23, v7, v23
	s_cbranch_scc1 .LBB5_1497
	s_branch .LBB5_1500
.LBB5_1498:                             ;   in Loop: Header=BB5_1455 Depth=1
                                        ; implicit-def: $vgpr22_vgpr23
                                        ; implicit-def: $sgpr22
	s_branch .LBB5_1501
.LBB5_1499:                             ;   in Loop: Header=BB5_1455 Depth=1
	v_mov_b32_e32 v22, 0
	v_mov_b32_e32 v23, 0
.LBB5_1500:                             ;   in Loop: Header=BB5_1455 Depth=1
	s_mov_b32 s22, 0
	s_cbranch_execnz .LBB5_1502
.LBB5_1501:                             ;   in Loop: Header=BB5_1455 Depth=1
	global_load_dwordx2 v[22:23], v3, s[4:5]
	s_add_i32 s22, s15, -8
	s_add_u32 s4, s4, 8
	s_addc_u32 s5, s5, 0
.LBB5_1502:                             ;   in Loop: Header=BB5_1455 Depth=1
	s_cmp_gt_u32 s22, 7
	s_cbranch_scc1 .LBB5_1506
; %bb.1503:                             ;   in Loop: Header=BB5_1455 Depth=1
	s_cmp_eq_u32 s22, 0
	s_cbranch_scc1 .LBB5_1507
; %bb.1504:                             ;   in Loop: Header=BB5_1455 Depth=1
	v_mov_b32_e32 v24, 0
	s_mov_b64 s[18:19], 0
	v_mov_b32_e32 v25, 0
	s_mov_b64 s[20:21], s[4:5]
.LBB5_1505:                             ;   Parent Loop BB5_1455 Depth=1
                                        ; =>  This Inner Loop Header: Depth=2
	global_load_ubyte v2, v3, s[20:21]
	s_add_i32 s22, s22, -1
	s_waitcnt vmcnt(0)
	v_and_b32_e32 v2, 0xffff, v2
	v_lshlrev_b64 v[6:7], s18, v[2:3]
	s_add_u32 s18, s18, 8
	s_addc_u32 s19, s19, 0
	s_add_u32 s20, s20, 1
	s_addc_u32 s21, s21, 0
	v_or_b32_e32 v24, v6, v24
	s_cmp_lg_u32 s22, 0
	v_or_b32_e32 v25, v7, v25
	s_cbranch_scc1 .LBB5_1505
	s_branch .LBB5_1508
.LBB5_1506:                             ;   in Loop: Header=BB5_1455 Depth=1
	s_branch .LBB5_1509
.LBB5_1507:                             ;   in Loop: Header=BB5_1455 Depth=1
	v_mov_b32_e32 v24, 0
	v_mov_b32_e32 v25, 0
.LBB5_1508:                             ;   in Loop: Header=BB5_1455 Depth=1
	s_cbranch_execnz .LBB5_1510
.LBB5_1509:                             ;   in Loop: Header=BB5_1455 Depth=1
	global_load_dwordx2 v[24:25], v3, s[4:5]
.LBB5_1510:                             ;   in Loop: Header=BB5_1455 Depth=1
	v_readfirstlane_b32 s4, v51
	v_mov_b32_e32 v6, 0
	v_mov_b32_e32 v7, 0
	v_cmp_eq_u32_e64 s[4:5], s4, v51
	s_and_saveexec_b64 s[18:19], s[4:5]
	s_cbranch_execz .LBB5_1516
; %bb.1511:                             ;   in Loop: Header=BB5_1455 Depth=1
	global_load_dwordx2 v[28:29], v3, s[36:37] offset:24 glc
	s_waitcnt vmcnt(0)
	buffer_wbinvl1_vol
	global_load_dwordx2 v[6:7], v3, s[36:37] offset:40
	global_load_dwordx2 v[26:27], v3, s[36:37]
	s_waitcnt vmcnt(1)
	v_and_b32_e32 v2, v6, v28
	v_and_b32_e32 v6, v7, v29
	v_mul_lo_u32 v6, v6, 24
	v_mul_hi_u32 v7, v2, 24
	v_mul_lo_u32 v2, v2, 24
	v_add_u32_e32 v7, v7, v6
	s_waitcnt vmcnt(0)
	v_add_co_u32_e32 v6, vcc, v26, v2
	v_addc_co_u32_e32 v7, vcc, v27, v7, vcc
	global_load_dwordx2 v[26:27], v[6:7], off glc
	s_waitcnt vmcnt(0)
	global_atomic_cmpswap_x2 v[6:7], v3, v[26:29], s[36:37] offset:24 glc
	s_waitcnt vmcnt(0)
	buffer_wbinvl1_vol
	v_cmp_ne_u64_e32 vcc, v[6:7], v[28:29]
	s_and_saveexec_b64 s[20:21], vcc
	s_cbranch_execz .LBB5_1515
; %bb.1512:                             ;   in Loop: Header=BB5_1455 Depth=1
	s_mov_b64 s[22:23], 0
.LBB5_1513:                             ;   Parent Loop BB5_1455 Depth=1
                                        ; =>  This Inner Loop Header: Depth=2
	s_sleep 1
	global_load_dwordx2 v[26:27], v3, s[36:37] offset:40
	global_load_dwordx2 v[30:31], v3, s[36:37]
	v_mov_b32_e32 v29, v7
	v_mov_b32_e32 v28, v6
	s_waitcnt vmcnt(1)
	v_and_b32_e32 v2, v26, v28
	s_waitcnt vmcnt(0)
	v_mad_u64_u32 v[6:7], s[24:25], v2, 24, v[30:31]
	v_and_b32_e32 v26, v27, v29
	v_mov_b32_e32 v2, v7
	v_mad_u64_u32 v[26:27], s[24:25], v26, 24, v[2:3]
	v_mov_b32_e32 v7, v26
	global_load_dwordx2 v[26:27], v[6:7], off glc
	s_waitcnt vmcnt(0)
	global_atomic_cmpswap_x2 v[6:7], v3, v[26:29], s[36:37] offset:24 glc
	s_waitcnt vmcnt(0)
	buffer_wbinvl1_vol
	v_cmp_eq_u64_e32 vcc, v[6:7], v[28:29]
	s_or_b64 s[22:23], vcc, s[22:23]
	s_andn2_b64 exec, exec, s[22:23]
	s_cbranch_execnz .LBB5_1513
; %bb.1514:                             ;   in Loop: Header=BB5_1455 Depth=1
	s_or_b64 exec, exec, s[22:23]
.LBB5_1515:                             ;   in Loop: Header=BB5_1455 Depth=1
	s_or_b64 exec, exec, s[20:21]
.LBB5_1516:                             ;   in Loop: Header=BB5_1455 Depth=1
	s_or_b64 exec, exec, s[18:19]
	global_load_dwordx2 v[30:31], v3, s[36:37] offset:40
	global_load_dwordx4 v[26:29], v3, s[36:37]
	v_readfirstlane_b32 s18, v6
	v_readfirstlane_b32 s19, v7
	s_mov_b64 s[20:21], exec
	s_waitcnt vmcnt(1)
	v_readfirstlane_b32 s22, v30
	v_readfirstlane_b32 s23, v31
	s_and_b64 s[22:23], s[18:19], s[22:23]
	s_mul_i32 s15, s23, 24
	s_mul_hi_u32 s24, s22, 24
	s_mul_i32 s25, s22, 24
	s_add_i32 s15, s24, s15
	v_mov_b32_e32 v2, s15
	s_waitcnt vmcnt(0)
	v_add_co_u32_e32 v30, vcc, s25, v26
	v_addc_co_u32_e32 v31, vcc, v27, v2, vcc
	s_and_saveexec_b64 s[24:25], s[4:5]
	s_cbranch_execz .LBB5_1518
; %bb.1517:                             ;   in Loop: Header=BB5_1455 Depth=1
	v_mov_b32_e32 v6, s20
	v_mov_b32_e32 v7, s21
	global_store_dwordx4 v[30:31], v[6:9], off offset:8
.LBB5_1518:                             ;   in Loop: Header=BB5_1455 Depth=1
	s_or_b64 exec, exec, s[24:25]
	s_lshl_b64 s[20:21], s[22:23], 12
	v_mov_b32_e32 v2, s21
	v_add_co_u32_e32 v28, vcc, s20, v28
	v_addc_co_u32_e32 v29, vcc, v29, v2, vcc
	v_cmp_gt_u64_e64 vcc, s[10:11], 56
	v_or_b32_e32 v2, 2, v10
	s_lshl_b32 s15, s16, 2
	v_cndmask_b32_e32 v2, v2, v10, vcc
	s_add_i32 s15, s15, 28
	s_and_b32 s15, s15, 0x1e0
	v_and_b32_e32 v2, 0xffffff1f, v2
	v_or_b32_e32 v10, s15, v2
	v_readfirstlane_b32 s20, v28
	v_readfirstlane_b32 s21, v29
	s_nop 4
	global_store_dwordx4 v50, v[10:13], s[20:21]
	global_store_dwordx4 v50, v[14:17], s[20:21] offset:16
	global_store_dwordx4 v50, v[18:21], s[20:21] offset:32
	;; [unrolled: 1-line block ×3, first 2 shown]
	s_and_saveexec_b64 s[20:21], s[4:5]
	s_cbranch_execz .LBB5_1526
; %bb.1519:                             ;   in Loop: Header=BB5_1455 Depth=1
	global_load_dwordx2 v[14:15], v3, s[36:37] offset:32 glc
	global_load_dwordx2 v[6:7], v3, s[36:37] offset:40
	v_mov_b32_e32 v12, s18
	v_mov_b32_e32 v13, s19
	s_waitcnt vmcnt(0)
	v_readfirstlane_b32 s22, v6
	v_readfirstlane_b32 s23, v7
	s_and_b64 s[22:23], s[22:23], s[18:19]
	s_mul_i32 s15, s23, 24
	s_mul_hi_u32 s23, s22, 24
	s_mul_i32 s22, s22, 24
	s_add_i32 s15, s23, s15
	v_mov_b32_e32 v2, s15
	v_add_co_u32_e32 v6, vcc, s22, v26
	v_addc_co_u32_e32 v7, vcc, v27, v2, vcc
	global_store_dwordx2 v[6:7], v[14:15], off
	s_waitcnt vmcnt(0)
	global_atomic_cmpswap_x2 v[12:13], v3, v[12:15], s[36:37] offset:32 glc
	s_waitcnt vmcnt(0)
	v_cmp_ne_u64_e32 vcc, v[12:13], v[14:15]
	s_and_saveexec_b64 s[22:23], vcc
	s_cbranch_execz .LBB5_1522
; %bb.1520:                             ;   in Loop: Header=BB5_1455 Depth=1
	s_mov_b64 s[24:25], 0
.LBB5_1521:                             ;   Parent Loop BB5_1455 Depth=1
                                        ; =>  This Inner Loop Header: Depth=2
	s_sleep 1
	global_store_dwordx2 v[6:7], v[12:13], off
	v_mov_b32_e32 v10, s18
	v_mov_b32_e32 v11, s19
	s_waitcnt vmcnt(0)
	global_atomic_cmpswap_x2 v[10:11], v3, v[10:13], s[36:37] offset:32 glc
	s_waitcnt vmcnt(0)
	v_cmp_eq_u64_e32 vcc, v[10:11], v[12:13]
	v_mov_b32_e32 v13, v11
	s_or_b64 s[24:25], vcc, s[24:25]
	v_mov_b32_e32 v12, v10
	s_andn2_b64 exec, exec, s[24:25]
	s_cbranch_execnz .LBB5_1521
.LBB5_1522:                             ;   in Loop: Header=BB5_1455 Depth=1
	s_or_b64 exec, exec, s[22:23]
	global_load_dwordx2 v[6:7], v3, s[36:37] offset:16
	s_mov_b64 s[24:25], exec
	v_mbcnt_lo_u32_b32 v2, s24, 0
	v_mbcnt_hi_u32_b32 v2, s25, v2
	v_cmp_eq_u32_e32 vcc, 0, v2
	s_and_saveexec_b64 s[22:23], vcc
	s_cbranch_execz .LBB5_1524
; %bb.1523:                             ;   in Loop: Header=BB5_1455 Depth=1
	s_bcnt1_i32_b64 s15, s[24:25]
	v_mov_b32_e32 v2, s15
	s_waitcnt vmcnt(0)
	global_atomic_add_x2 v[6:7], v[2:3], off offset:8
.LBB5_1524:                             ;   in Loop: Header=BB5_1455 Depth=1
	s_or_b64 exec, exec, s[22:23]
	s_waitcnt vmcnt(0)
	global_load_dwordx2 v[10:11], v[6:7], off offset:16
	s_waitcnt vmcnt(0)
	v_cmp_eq_u64_e32 vcc, 0, v[10:11]
	s_cbranch_vccnz .LBB5_1526
; %bb.1525:                             ;   in Loop: Header=BB5_1455 Depth=1
	global_load_dword v2, v[6:7], off offset:24
	s_waitcnt vmcnt(0)
	global_store_dwordx2 v[10:11], v[2:3], off
	v_and_b32_e32 v2, 0xffffff, v2
	v_readfirstlane_b32 m0, v2
	s_sendmsg sendmsg(MSG_INTERRUPT)
.LBB5_1526:                             ;   in Loop: Header=BB5_1455 Depth=1
	s_or_b64 exec, exec, s[20:21]
	v_add_co_u32_e32 v6, vcc, v28, v50
	v_addc_co_u32_e32 v7, vcc, 0, v29, vcc
	s_branch .LBB5_1530
.LBB5_1527:                             ;   in Loop: Header=BB5_1530 Depth=2
	s_or_b64 exec, exec, s[20:21]
	v_readfirstlane_b32 s15, v2
	s_cmp_eq_u32 s15, 0
	s_cbranch_scc1 .LBB5_1529
; %bb.1528:                             ;   in Loop: Header=BB5_1530 Depth=2
	s_sleep 1
	s_cbranch_execnz .LBB5_1530
	s_branch .LBB5_1532
.LBB5_1529:                             ;   in Loop: Header=BB5_1455 Depth=1
	s_branch .LBB5_1532
.LBB5_1530:                             ;   Parent Loop BB5_1455 Depth=1
                                        ; =>  This Inner Loop Header: Depth=2
	v_mov_b32_e32 v2, 1
	s_and_saveexec_b64 s[20:21], s[4:5]
	s_cbranch_execz .LBB5_1527
; %bb.1531:                             ;   in Loop: Header=BB5_1530 Depth=2
	global_load_dword v2, v[30:31], off offset:20 glc
	s_waitcnt vmcnt(0)
	buffer_wbinvl1_vol
	v_and_b32_e32 v2, 1, v2
	s_branch .LBB5_1527
.LBB5_1532:                             ;   in Loop: Header=BB5_1455 Depth=1
	global_load_dwordx4 v[10:13], v[6:7], off
	s_and_saveexec_b64 s[20:21], s[4:5]
	s_cbranch_execz .LBB5_1454
; %bb.1533:                             ;   in Loop: Header=BB5_1455 Depth=1
	global_load_dwordx2 v[6:7], v3, s[36:37] offset:40
	global_load_dwordx2 v[16:17], v3, s[36:37] offset:24 glc
	global_load_dwordx2 v[18:19], v3, s[36:37]
	v_mov_b32_e32 v2, s19
	s_waitcnt vmcnt(2)
	v_add_co_u32_e32 v14, vcc, 1, v6
	v_addc_co_u32_e32 v15, vcc, 0, v7, vcc
	v_add_co_u32_e32 v12, vcc, s18, v14
	v_addc_co_u32_e32 v13, vcc, v15, v2, vcc
	v_cmp_eq_u64_e32 vcc, 0, v[12:13]
	v_cndmask_b32_e32 v13, v13, v15, vcc
	v_cndmask_b32_e32 v12, v12, v14, vcc
	v_and_b32_e32 v2, v13, v7
	v_and_b32_e32 v6, v12, v6
	v_mul_lo_u32 v2, v2, 24
	v_mul_hi_u32 v7, v6, 24
	v_mul_lo_u32 v6, v6, 24
	s_waitcnt vmcnt(1)
	v_mov_b32_e32 v14, v16
	v_mov_b32_e32 v15, v17
	v_add_u32_e32 v2, v7, v2
	s_waitcnt vmcnt(0)
	v_add_co_u32_e32 v6, vcc, v18, v6
	v_addc_co_u32_e32 v7, vcc, v19, v2, vcc
	global_store_dwordx2 v[6:7], v[16:17], off
	s_waitcnt vmcnt(0)
	global_atomic_cmpswap_x2 v[14:15], v3, v[12:15], s[36:37] offset:24 glc
	s_waitcnt vmcnt(0)
	v_cmp_ne_u64_e32 vcc, v[14:15], v[16:17]
	s_and_b64 exec, exec, vcc
	s_cbranch_execz .LBB5_1454
; %bb.1534:                             ;   in Loop: Header=BB5_1455 Depth=1
	s_mov_b64 s[4:5], 0
.LBB5_1535:                             ;   Parent Loop BB5_1455 Depth=1
                                        ; =>  This Inner Loop Header: Depth=2
	s_sleep 1
	global_store_dwordx2 v[6:7], v[14:15], off
	s_waitcnt vmcnt(0)
	global_atomic_cmpswap_x2 v[16:17], v3, v[12:15], s[36:37] offset:24 glc
	s_waitcnt vmcnt(0)
	v_cmp_eq_u64_e32 vcc, v[16:17], v[14:15]
	v_mov_b32_e32 v14, v16
	s_or_b64 s[4:5], vcc, s[4:5]
	v_mov_b32_e32 v15, v17
	s_andn2_b64 exec, exec, s[4:5]
	s_cbranch_execnz .LBB5_1535
	s_branch .LBB5_1454
.LBB5_1536:
	s_mov_b64 s[4:5], 0
	s_branch .LBB5_1538
.LBB5_1537:
	s_mov_b64 s[4:5], -1
.LBB5_1538:
	s_mov_b32 s40, s12
	s_mov_b32 s41, s13
	;; [unrolled: 1-line block ×3, first 2 shown]
	s_and_b64 vcc, exec, s[4:5]
	s_cbranch_vccz .LBB5_1565
; %bb.1539:
	v_readfirstlane_b32 s4, v51
	s_waitcnt vmcnt(0)
	v_mov_b32_e32 v10, 0
	v_mov_b32_e32 v11, 0
	v_cmp_eq_u32_e64 s[4:5], s4, v51
	s_and_saveexec_b64 s[6:7], s[4:5]
	s_cbranch_execz .LBB5_1545
; %bb.1540:
	v_mov_b32_e32 v2, 0
	global_load_dwordx2 v[8:9], v2, s[36:37] offset:24 glc
	s_waitcnt vmcnt(0)
	buffer_wbinvl1_vol
	global_load_dwordx2 v[6:7], v2, s[36:37] offset:40
	global_load_dwordx2 v[10:11], v2, s[36:37]
	s_waitcnt vmcnt(1)
	v_and_b32_e32 v3, v6, v8
	v_and_b32_e32 v6, v7, v9
	v_mul_lo_u32 v6, v6, 24
	v_mul_hi_u32 v7, v3, 24
	v_mul_lo_u32 v3, v3, 24
	v_add_u32_e32 v7, v7, v6
	s_waitcnt vmcnt(0)
	v_add_co_u32_e32 v6, vcc, v10, v3
	v_addc_co_u32_e32 v7, vcc, v11, v7, vcc
	global_load_dwordx2 v[6:7], v[6:7], off glc
	s_waitcnt vmcnt(0)
	global_atomic_cmpswap_x2 v[10:11], v2, v[6:9], s[36:37] offset:24 glc
	s_waitcnt vmcnt(0)
	buffer_wbinvl1_vol
	v_cmp_ne_u64_e32 vcc, v[10:11], v[8:9]
	s_and_saveexec_b64 s[10:11], vcc
	s_cbranch_execz .LBB5_1544
; %bb.1541:
	s_mov_b64 s[12:13], 0
.LBB5_1542:                             ; =>This Inner Loop Header: Depth=1
	s_sleep 1
	global_load_dwordx2 v[6:7], v2, s[36:37] offset:40
	global_load_dwordx2 v[12:13], v2, s[36:37]
	v_mov_b32_e32 v8, v10
	v_mov_b32_e32 v9, v11
	s_waitcnt vmcnt(1)
	v_and_b32_e32 v3, v6, v8
	s_waitcnt vmcnt(0)
	v_mad_u64_u32 v[10:11], s[14:15], v3, 24, v[12:13]
	v_and_b32_e32 v6, v7, v9
	v_mov_b32_e32 v3, v11
	v_mad_u64_u32 v[6:7], s[14:15], v6, 24, v[3:4]
	v_mov_b32_e32 v11, v6
	global_load_dwordx2 v[6:7], v[10:11], off glc
	s_waitcnt vmcnt(0)
	global_atomic_cmpswap_x2 v[10:11], v2, v[6:9], s[36:37] offset:24 glc
	s_waitcnt vmcnt(0)
	buffer_wbinvl1_vol
	v_cmp_eq_u64_e32 vcc, v[10:11], v[8:9]
	s_or_b64 s[12:13], vcc, s[12:13]
	s_andn2_b64 exec, exec, s[12:13]
	s_cbranch_execnz .LBB5_1542
; %bb.1543:
	s_or_b64 exec, exec, s[12:13]
.LBB5_1544:
	s_or_b64 exec, exec, s[10:11]
.LBB5_1545:
	s_or_b64 exec, exec, s[6:7]
	v_mov_b32_e32 v2, 0
	global_load_dwordx2 v[12:13], v2, s[36:37] offset:40
	global_load_dwordx4 v[6:9], v2, s[36:37]
	v_readfirstlane_b32 s6, v10
	v_readfirstlane_b32 s7, v11
	s_mov_b64 s[10:11], exec
	s_waitcnt vmcnt(1)
	v_readfirstlane_b32 s12, v12
	v_readfirstlane_b32 s13, v13
	s_and_b64 s[12:13], s[6:7], s[12:13]
	s_mul_i32 s14, s13, 24
	s_mul_hi_u32 s15, s12, 24
	s_mul_i32 s16, s12, 24
	s_add_i32 s14, s15, s14
	v_mov_b32_e32 v3, s14
	s_waitcnt vmcnt(0)
	v_add_co_u32_e32 v10, vcc, s16, v6
	v_addc_co_u32_e32 v11, vcc, v7, v3, vcc
	s_and_saveexec_b64 s[14:15], s[4:5]
	s_cbranch_execz .LBB5_1547
; %bb.1546:
	v_mov_b32_e32 v13, s11
	v_mov_b32_e32 v12, s10
	;; [unrolled: 1-line block ×4, first 2 shown]
	global_store_dwordx4 v[10:11], v[12:15], off offset:8
.LBB5_1547:
	s_or_b64 exec, exec, s[14:15]
	s_lshl_b64 s[10:11], s[12:13], 12
	v_mov_b32_e32 v3, s11
	v_add_co_u32_e32 v8, vcc, s10, v8
	v_addc_co_u32_e32 v9, vcc, v9, v3, vcc
	s_movk_i32 s10, 0xff1d
	v_and_or_b32 v0, v0, s10, 34
	s_mov_b32 s12, 0
	v_mov_b32_e32 v3, v2
	v_readfirstlane_b32 s10, v8
	v_readfirstlane_b32 s11, v9
	s_mov_b32 s13, s12
	s_mov_b32 s14, s12
	;; [unrolled: 1-line block ×3, first 2 shown]
	s_nop 1
	global_store_dwordx4 v50, v[0:3], s[10:11]
	s_nop 0
	v_mov_b32_e32 v0, s12
	v_mov_b32_e32 v1, s13
	;; [unrolled: 1-line block ×4, first 2 shown]
	global_store_dwordx4 v50, v[0:3], s[10:11] offset:16
	global_store_dwordx4 v50, v[0:3], s[10:11] offset:32
	;; [unrolled: 1-line block ×3, first 2 shown]
	s_and_saveexec_b64 s[10:11], s[4:5]
	s_cbranch_execz .LBB5_1555
; %bb.1548:
	v_mov_b32_e32 v8, 0
	global_load_dwordx2 v[14:15], v8, s[36:37] offset:32 glc
	global_load_dwordx2 v[0:1], v8, s[36:37] offset:40
	v_mov_b32_e32 v12, s6
	v_mov_b32_e32 v13, s7
	s_waitcnt vmcnt(0)
	v_readfirstlane_b32 s12, v0
	v_readfirstlane_b32 s13, v1
	s_and_b64 s[12:13], s[12:13], s[6:7]
	s_mul_i32 s13, s13, 24
	s_mul_hi_u32 s14, s12, 24
	s_mul_i32 s12, s12, 24
	s_add_i32 s13, s14, s13
	v_mov_b32_e32 v0, s13
	v_add_co_u32_e32 v6, vcc, s12, v6
	v_addc_co_u32_e32 v7, vcc, v7, v0, vcc
	global_store_dwordx2 v[6:7], v[14:15], off
	s_waitcnt vmcnt(0)
	global_atomic_cmpswap_x2 v[2:3], v8, v[12:15], s[36:37] offset:32 glc
	s_waitcnt vmcnt(0)
	v_cmp_ne_u64_e32 vcc, v[2:3], v[14:15]
	s_and_saveexec_b64 s[12:13], vcc
	s_cbranch_execz .LBB5_1551
; %bb.1549:
	s_mov_b64 s[14:15], 0
.LBB5_1550:                             ; =>This Inner Loop Header: Depth=1
	s_sleep 1
	global_store_dwordx2 v[6:7], v[2:3], off
	v_mov_b32_e32 v0, s6
	v_mov_b32_e32 v1, s7
	s_waitcnt vmcnt(0)
	global_atomic_cmpswap_x2 v[0:1], v8, v[0:3], s[36:37] offset:32 glc
	s_waitcnt vmcnt(0)
	v_cmp_eq_u64_e32 vcc, v[0:1], v[2:3]
	v_mov_b32_e32 v3, v1
	s_or_b64 s[14:15], vcc, s[14:15]
	v_mov_b32_e32 v2, v0
	s_andn2_b64 exec, exec, s[14:15]
	s_cbranch_execnz .LBB5_1550
.LBB5_1551:
	s_or_b64 exec, exec, s[12:13]
	v_mov_b32_e32 v3, 0
	global_load_dwordx2 v[0:1], v3, s[36:37] offset:16
	s_mov_b64 s[12:13], exec
	v_mbcnt_lo_u32_b32 v2, s12, 0
	v_mbcnt_hi_u32_b32 v2, s13, v2
	v_cmp_eq_u32_e32 vcc, 0, v2
	s_and_saveexec_b64 s[14:15], vcc
	s_cbranch_execz .LBB5_1553
; %bb.1552:
	s_bcnt1_i32_b64 s12, s[12:13]
	v_mov_b32_e32 v2, s12
	s_waitcnt vmcnt(0)
	global_atomic_add_x2 v[0:1], v[2:3], off offset:8
.LBB5_1553:
	s_or_b64 exec, exec, s[14:15]
	s_waitcnt vmcnt(0)
	global_load_dwordx2 v[2:3], v[0:1], off offset:16
	s_waitcnt vmcnt(0)
	v_cmp_eq_u64_e32 vcc, 0, v[2:3]
	s_cbranch_vccnz .LBB5_1555
; %bb.1554:
	global_load_dword v0, v[0:1], off offset:24
	v_mov_b32_e32 v1, 0
	s_waitcnt vmcnt(0)
	global_store_dwordx2 v[2:3], v[0:1], off
	v_and_b32_e32 v0, 0xffffff, v0
	v_readfirstlane_b32 m0, v0
	s_sendmsg sendmsg(MSG_INTERRUPT)
.LBB5_1555:
	s_or_b64 exec, exec, s[10:11]
	s_branch .LBB5_1559
.LBB5_1556:                             ;   in Loop: Header=BB5_1559 Depth=1
	s_or_b64 exec, exec, s[10:11]
	v_readfirstlane_b32 s10, v0
	s_cmp_eq_u32 s10, 0
	s_cbranch_scc1 .LBB5_1558
; %bb.1557:                             ;   in Loop: Header=BB5_1559 Depth=1
	s_sleep 1
	s_cbranch_execnz .LBB5_1559
	s_branch .LBB5_1561
.LBB5_1558:
	s_branch .LBB5_1561
.LBB5_1559:                             ; =>This Inner Loop Header: Depth=1
	v_mov_b32_e32 v0, 1
	s_and_saveexec_b64 s[10:11], s[4:5]
	s_cbranch_execz .LBB5_1556
; %bb.1560:                             ;   in Loop: Header=BB5_1559 Depth=1
	global_load_dword v0, v[10:11], off offset:20 glc
	s_waitcnt vmcnt(0)
	buffer_wbinvl1_vol
	v_and_b32_e32 v0, 1, v0
	s_branch .LBB5_1556
.LBB5_1561:
	s_and_saveexec_b64 s[10:11], s[4:5]
	s_cbranch_execz .LBB5_1564
; %bb.1562:
	v_mov_b32_e32 v8, 0
	global_load_dwordx2 v[2:3], v8, s[36:37] offset:40
	global_load_dwordx2 v[9:10], v8, s[36:37] offset:24 glc
	global_load_dwordx2 v[6:7], v8, s[36:37]
	v_mov_b32_e32 v1, s7
	s_mov_b64 s[4:5], 0
	s_waitcnt vmcnt(2)
	v_add_co_u32_e32 v11, vcc, 1, v2
	v_addc_co_u32_e32 v12, vcc, 0, v3, vcc
	v_add_co_u32_e32 v0, vcc, s6, v11
	v_addc_co_u32_e32 v1, vcc, v12, v1, vcc
	v_cmp_eq_u64_e32 vcc, 0, v[0:1]
	v_cndmask_b32_e32 v1, v1, v12, vcc
	v_cndmask_b32_e32 v0, v0, v11, vcc
	v_and_b32_e32 v3, v1, v3
	v_and_b32_e32 v2, v0, v2
	v_mul_lo_u32 v3, v3, 24
	v_mul_hi_u32 v11, v2, 24
	v_mul_lo_u32 v12, v2, 24
	s_waitcnt vmcnt(1)
	v_mov_b32_e32 v2, v9
	v_add_u32_e32 v3, v11, v3
	s_waitcnt vmcnt(0)
	v_add_co_u32_e32 v6, vcc, v6, v12
	v_addc_co_u32_e32 v7, vcc, v7, v3, vcc
	global_store_dwordx2 v[6:7], v[9:10], off
	v_mov_b32_e32 v3, v10
	s_waitcnt vmcnt(0)
	global_atomic_cmpswap_x2 v[2:3], v8, v[0:3], s[36:37] offset:24 glc
	s_waitcnt vmcnt(0)
	v_cmp_ne_u64_e32 vcc, v[2:3], v[9:10]
	s_and_b64 exec, exec, vcc
	s_cbranch_execz .LBB5_1564
.LBB5_1563:                             ; =>This Inner Loop Header: Depth=1
	s_sleep 1
	global_store_dwordx2 v[6:7], v[2:3], off
	s_waitcnt vmcnt(0)
	global_atomic_cmpswap_x2 v[9:10], v8, v[0:3], s[36:37] offset:24 glc
	s_waitcnt vmcnt(0)
	v_cmp_eq_u64_e32 vcc, v[9:10], v[2:3]
	v_mov_b32_e32 v2, v9
	s_or_b64 s[4:5], vcc, s[4:5]
	v_mov_b32_e32 v3, v10
	s_andn2_b64 exec, exec, s[4:5]
	s_cbranch_execnz .LBB5_1563
.LBB5_1564:
	s_or_b64 exec, exec, s[10:11]
.LBB5_1565:
	s_waitcnt vmcnt(0)
	v_mov_b32_e32 v0, v4
	v_mov_b32_e32 v1, v5
	s_getpc_b64 s[44:45]
	s_add_u32 s44, s44, _ZNK8migraphx13basic_printerIZNS_4coutEvEUlT_E_ElsEPKc@rel32@lo+4
	s_addc_u32 s45, s45, _ZNK8migraphx13basic_printerIZNS_4coutEvEUlT_E_ElsEPKc@rel32@hi+12
	s_mov_b64 s[26:27], s[8:9]
	s_swappc_b64 s[30:31], s[44:45]
	s_getpc_b64 s[4:5]
	s_add_u32 s4, s4, .str.3@rel32@lo+4
	s_addc_u32 s5, s5, .str.3@rel32@hi+12
	s_mov_b64 s[8:9], s[26:27]
	v_mov_b32_e32 v0, s4
	v_mov_b32_e32 v1, s5
	s_swappc_b64 s[30:31], s[44:45]
	flat_load_dwordx2 v[0:1], v[38:39]
	s_mov_b64 s[8:9], s[26:27]
	s_getpc_b64 s[46:47]
	s_add_u32 s46, s46, _ZN8migraphx4test12print_streamIKNS_13basic_printerIZNS_4coutEvEUlT_E_EEPiEEvRS3_RKT0_@rel32@lo+4
	s_addc_u32 s47, s47, _ZN8migraphx4test12print_streamIKNS_13basic_printerIZNS_4coutEvEUlT_E_EEPiEEvRS3_RKT0_@rel32@hi+12
	s_waitcnt vmcnt(0) lgkmcnt(0)
	flat_load_dwordx2 v[0:1], v[0:1]
	s_swappc_b64 s[30:31], s[46:47]
	s_getpc_b64 s[24:25]
	s_add_u32 s24, s24, .str.8@rel32@lo+4
	s_addc_u32 s25, s25, .str.8@rel32@hi+12
	s_mov_b64 s[8:9], s[26:27]
	v_mov_b32_e32 v0, s24
	v_mov_b32_e32 v1, s25
	s_swappc_b64 s[30:31], s[44:45]
	s_getpc_b64 s[4:5]
	s_add_u32 s4, s4, .str.10@rel32@lo+4
	s_addc_u32 s5, s5, .str.10@rel32@hi+12
	s_mov_b64 s[8:9], s[26:27]
	v_mov_b32_e32 v0, s4
	v_mov_b32_e32 v1, s5
	s_swappc_b64 s[30:31], s[44:45]
	s_mov_b64 s[8:9], s[26:27]
	v_mov_b32_e32 v0, s24
	v_mov_b32_e32 v1, s25
	s_swappc_b64 s[30:31], s[44:45]
	flat_load_dwordx2 v[0:1], v[38:39] offset:8
	s_mov_b64 s[8:9], s[26:27]
	s_swappc_b64 s[30:31], s[46:47]
	s_getpc_b64 s[4:5]
	s_add_u32 s4, s4, .str.4@rel32@lo+4
	s_addc_u32 s5, s5, .str.4@rel32@hi+12
	s_mov_b64 s[8:9], s[26:27]
	v_mov_b32_e32 v0, s4
	v_mov_b32_e32 v1, s5
	s_mov_b64 s[24:25], s[26:27]
	s_swappc_b64 s[30:31], s[44:45]
	v_readfirstlane_b32 s4, v51
	v_mov_b32_e32 v5, 0
	v_mov_b32_e32 v6, 0
	v_cmp_eq_u32_e64 s[4:5], s4, v51
	s_and_saveexec_b64 s[6:7], s[4:5]
	s_mov_b32 s14, s42
	s_mov_b32 s13, s41
	s_mov_b32 s12, s40
	s_cbranch_execz .LBB5_1571
; %bb.1566:
	v_mov_b32_e32 v0, 0
	global_load_dwordx2 v[3:4], v0, s[36:37] offset:24 glc
	s_waitcnt vmcnt(0)
	buffer_wbinvl1_vol
	global_load_dwordx2 v[1:2], v0, s[36:37] offset:40
	global_load_dwordx2 v[5:6], v0, s[36:37]
	s_waitcnt vmcnt(1)
	v_and_b32_e32 v1, v1, v3
	v_and_b32_e32 v2, v2, v4
	v_mul_lo_u32 v2, v2, 24
	v_mul_hi_u32 v7, v1, 24
	v_mul_lo_u32 v1, v1, 24
	v_add_u32_e32 v2, v7, v2
	s_waitcnt vmcnt(0)
	v_add_co_u32_e32 v1, vcc, v5, v1
	v_addc_co_u32_e32 v2, vcc, v6, v2, vcc
	global_load_dwordx2 v[1:2], v[1:2], off glc
	s_waitcnt vmcnt(0)
	global_atomic_cmpswap_x2 v[5:6], v0, v[1:4], s[36:37] offset:24 glc
	s_waitcnt vmcnt(0)
	buffer_wbinvl1_vol
	v_cmp_ne_u64_e32 vcc, v[5:6], v[3:4]
	s_and_saveexec_b64 s[8:9], vcc
	s_cbranch_execz .LBB5_1570
; %bb.1567:
	s_mov_b64 s[10:11], 0
.LBB5_1568:                             ; =>This Inner Loop Header: Depth=1
	s_sleep 1
	global_load_dwordx2 v[1:2], v0, s[36:37] offset:40
	global_load_dwordx2 v[7:8], v0, s[36:37]
	v_mov_b32_e32 v3, v5
	v_mov_b32_e32 v4, v6
	s_waitcnt vmcnt(1)
	v_and_b32_e32 v1, v1, v3
	s_waitcnt vmcnt(0)
	v_mad_u64_u32 v[5:6], s[16:17], v1, 24, v[7:8]
	v_and_b32_e32 v2, v2, v4
	v_mov_b32_e32 v1, v6
	v_mad_u64_u32 v[1:2], s[16:17], v2, 24, v[1:2]
	v_mov_b32_e32 v6, v1
	global_load_dwordx2 v[1:2], v[5:6], off glc
	s_waitcnt vmcnt(0)
	global_atomic_cmpswap_x2 v[5:6], v0, v[1:4], s[36:37] offset:24 glc
	s_waitcnt vmcnt(0)
	buffer_wbinvl1_vol
	v_cmp_eq_u64_e32 vcc, v[5:6], v[3:4]
	s_or_b64 s[10:11], vcc, s[10:11]
	s_andn2_b64 exec, exec, s[10:11]
	s_cbranch_execnz .LBB5_1568
; %bb.1569:
	s_or_b64 exec, exec, s[10:11]
.LBB5_1570:
	s_or_b64 exec, exec, s[8:9]
.LBB5_1571:
	s_or_b64 exec, exec, s[6:7]
	v_mov_b32_e32 v4, 0
	global_load_dwordx2 v[7:8], v4, s[36:37] offset:40
	global_load_dwordx4 v[0:3], v4, s[36:37]
	v_readfirstlane_b32 s6, v5
	v_readfirstlane_b32 s7, v6
	s_mov_b64 s[8:9], exec
	s_waitcnt vmcnt(1)
	v_readfirstlane_b32 s10, v7
	v_readfirstlane_b32 s11, v8
	s_and_b64 s[10:11], s[6:7], s[10:11]
	s_mul_i32 s15, s11, 24
	s_mul_hi_u32 s16, s10, 24
	s_mul_i32 s17, s10, 24
	s_add_i32 s15, s16, s15
	v_mov_b32_e32 v5, s15
	s_waitcnt vmcnt(0)
	v_add_co_u32_e32 v7, vcc, s17, v0
	v_addc_co_u32_e32 v8, vcc, v1, v5, vcc
	s_and_saveexec_b64 s[16:17], s[4:5]
	s_cbranch_execz .LBB5_1573
; %bb.1572:
	v_mov_b32_e32 v10, s9
	v_mov_b32_e32 v9, s8
	;; [unrolled: 1-line block ×4, first 2 shown]
	global_store_dwordx4 v[7:8], v[9:12], off offset:8
.LBB5_1573:
	s_or_b64 exec, exec, s[16:17]
	s_lshl_b64 s[8:9], s[10:11], 12
	v_mov_b32_e32 v5, s9
	v_add_co_u32_e32 v2, vcc, s8, v2
	v_addc_co_u32_e32 v11, vcc, v3, v5, vcc
	s_mov_b32 s8, 0
	v_mov_b32_e32 v3, 33
	v_mov_b32_e32 v5, v4
	;; [unrolled: 1-line block ×3, first 2 shown]
	v_readfirstlane_b32 s16, v2
	v_readfirstlane_b32 s17, v11
	v_add_co_u32_e32 v9, vcc, v2, v50
	s_mov_b32 s9, s8
	s_mov_b32 s10, s8
	;; [unrolled: 1-line block ×3, first 2 shown]
	s_nop 0
	global_store_dwordx4 v50, v[3:6], s[16:17]
	v_mov_b32_e32 v2, s8
	v_addc_co_u32_e32 v10, vcc, 0, v11, vcc
	v_mov_b32_e32 v3, s9
	v_mov_b32_e32 v4, s10
	;; [unrolled: 1-line block ×3, first 2 shown]
	global_store_dwordx4 v50, v[2:5], s[16:17] offset:16
	global_store_dwordx4 v50, v[2:5], s[16:17] offset:32
	;; [unrolled: 1-line block ×3, first 2 shown]
	s_and_saveexec_b64 s[10:11], s[4:5]
	s_mov_b64 s[8:9], s[24:25]
	s_cbranch_execz .LBB5_1581
; %bb.1574:
	v_mov_b32_e32 v6, 0
	global_load_dwordx2 v[13:14], v6, s[36:37] offset:32 glc
	global_load_dwordx2 v[2:3], v6, s[36:37] offset:40
	v_mov_b32_e32 v11, s6
	v_mov_b32_e32 v12, s7
	s_waitcnt vmcnt(0)
	v_readfirstlane_b32 s16, v2
	v_readfirstlane_b32 s17, v3
	s_and_b64 s[16:17], s[16:17], s[6:7]
	s_mul_i32 s15, s17, 24
	s_mul_hi_u32 s17, s16, 24
	s_mul_i32 s16, s16, 24
	s_add_i32 s15, s17, s15
	v_mov_b32_e32 v2, s15
	v_add_co_u32_e32 v4, vcc, s16, v0
	v_addc_co_u32_e32 v5, vcc, v1, v2, vcc
	global_store_dwordx2 v[4:5], v[13:14], off
	s_waitcnt vmcnt(0)
	global_atomic_cmpswap_x2 v[2:3], v6, v[11:14], s[36:37] offset:32 glc
	s_waitcnt vmcnt(0)
	v_cmp_ne_u64_e32 vcc, v[2:3], v[13:14]
	s_and_saveexec_b64 s[16:17], vcc
	s_cbranch_execz .LBB5_1577
; %bb.1575:
	s_mov_b64 s[18:19], 0
.LBB5_1576:                             ; =>This Inner Loop Header: Depth=1
	s_sleep 1
	global_store_dwordx2 v[4:5], v[2:3], off
	v_mov_b32_e32 v0, s6
	v_mov_b32_e32 v1, s7
	s_waitcnt vmcnt(0)
	global_atomic_cmpswap_x2 v[0:1], v6, v[0:3], s[36:37] offset:32 glc
	s_waitcnt vmcnt(0)
	v_cmp_eq_u64_e32 vcc, v[0:1], v[2:3]
	v_mov_b32_e32 v3, v1
	s_or_b64 s[18:19], vcc, s[18:19]
	v_mov_b32_e32 v2, v0
	s_andn2_b64 exec, exec, s[18:19]
	s_cbranch_execnz .LBB5_1576
.LBB5_1577:
	s_or_b64 exec, exec, s[16:17]
	v_mov_b32_e32 v3, 0
	global_load_dwordx2 v[0:1], v3, s[36:37] offset:16
	s_mov_b64 s[16:17], exec
	v_mbcnt_lo_u32_b32 v2, s16, 0
	v_mbcnt_hi_u32_b32 v2, s17, v2
	v_cmp_eq_u32_e32 vcc, 0, v2
	s_and_saveexec_b64 s[18:19], vcc
	s_cbranch_execz .LBB5_1579
; %bb.1578:
	s_bcnt1_i32_b64 s15, s[16:17]
	v_mov_b32_e32 v2, s15
	s_waitcnt vmcnt(0)
	global_atomic_add_x2 v[0:1], v[2:3], off offset:8
.LBB5_1579:
	s_or_b64 exec, exec, s[18:19]
	s_waitcnt vmcnt(0)
	global_load_dwordx2 v[2:3], v[0:1], off offset:16
	s_waitcnt vmcnt(0)
	v_cmp_eq_u64_e32 vcc, 0, v[2:3]
	s_cbranch_vccnz .LBB5_1581
; %bb.1580:
	global_load_dword v0, v[0:1], off offset:24
	v_mov_b32_e32 v1, 0
	s_waitcnt vmcnt(0)
	global_store_dwordx2 v[2:3], v[0:1], off
	v_and_b32_e32 v0, 0xffffff, v0
	v_readfirstlane_b32 m0, v0
	s_sendmsg sendmsg(MSG_INTERRUPT)
.LBB5_1581:
	s_or_b64 exec, exec, s[10:11]
	s_branch .LBB5_1585
.LBB5_1582:                             ;   in Loop: Header=BB5_1585 Depth=1
	s_or_b64 exec, exec, s[10:11]
	v_readfirstlane_b32 s10, v0
	s_cmp_eq_u32 s10, 0
	s_cbranch_scc1 .LBB5_1584
; %bb.1583:                             ;   in Loop: Header=BB5_1585 Depth=1
	s_sleep 1
	s_cbranch_execnz .LBB5_1585
	s_branch .LBB5_1587
.LBB5_1584:
	s_branch .LBB5_1587
.LBB5_1585:                             ; =>This Inner Loop Header: Depth=1
	v_mov_b32_e32 v0, 1
	s_and_saveexec_b64 s[10:11], s[4:5]
	s_cbranch_execz .LBB5_1582
; %bb.1586:                             ;   in Loop: Header=BB5_1585 Depth=1
	global_load_dword v0, v[7:8], off offset:20 glc
	s_waitcnt vmcnt(0)
	buffer_wbinvl1_vol
	v_and_b32_e32 v0, 1, v0
	s_branch .LBB5_1582
.LBB5_1587:
	global_load_dwordx2 v[0:1], v[9:10], off
	s_and_saveexec_b64 s[10:11], s[4:5]
	s_cbranch_execz .LBB5_1590
; %bb.1588:
	v_mov_b32_e32 v8, 0
	global_load_dwordx2 v[4:5], v8, s[36:37] offset:40
	global_load_dwordx2 v[9:10], v8, s[36:37] offset:24 glc
	global_load_dwordx2 v[6:7], v8, s[36:37]
	v_mov_b32_e32 v3, s7
	s_mov_b64 s[4:5], 0
	s_waitcnt vmcnt(2)
	v_add_co_u32_e32 v11, vcc, 1, v4
	v_addc_co_u32_e32 v12, vcc, 0, v5, vcc
	v_add_co_u32_e32 v2, vcc, s6, v11
	v_addc_co_u32_e32 v3, vcc, v12, v3, vcc
	v_cmp_eq_u64_e32 vcc, 0, v[2:3]
	v_cndmask_b32_e32 v3, v3, v12, vcc
	v_cndmask_b32_e32 v2, v2, v11, vcc
	v_and_b32_e32 v5, v3, v5
	v_and_b32_e32 v4, v2, v4
	v_mul_lo_u32 v5, v5, 24
	v_mul_hi_u32 v11, v4, 24
	v_mul_lo_u32 v12, v4, 24
	s_waitcnt vmcnt(1)
	v_mov_b32_e32 v4, v9
	v_add_u32_e32 v5, v11, v5
	s_waitcnt vmcnt(0)
	v_add_co_u32_e32 v6, vcc, v6, v12
	v_addc_co_u32_e32 v7, vcc, v7, v5, vcc
	global_store_dwordx2 v[6:7], v[9:10], off
	v_mov_b32_e32 v5, v10
	s_waitcnt vmcnt(0)
	global_atomic_cmpswap_x2 v[4:5], v8, v[2:5], s[36:37] offset:24 glc
	s_waitcnt vmcnt(0)
	v_cmp_ne_u64_e32 vcc, v[4:5], v[9:10]
	s_and_b64 exec, exec, vcc
	s_cbranch_execz .LBB5_1590
.LBB5_1589:                             ; =>This Inner Loop Header: Depth=1
	s_sleep 1
	global_store_dwordx2 v[6:7], v[4:5], off
	s_waitcnt vmcnt(0)
	global_atomic_cmpswap_x2 v[9:10], v8, v[2:5], s[36:37] offset:24 glc
	s_waitcnt vmcnt(0)
	v_cmp_eq_u64_e32 vcc, v[9:10], v[4:5]
	v_mov_b32_e32 v4, v9
	s_or_b64 s[4:5], vcc, s[4:5]
	v_mov_b32_e32 v5, v10
	s_andn2_b64 exec, exec, s[4:5]
	s_cbranch_execnz .LBB5_1589
.LBB5_1590:
	s_or_b64 exec, exec, s[10:11]
	s_and_b64 vcc, exec, s[38:39]
	s_cbranch_vccz .LBB5_1675
; %bb.1591:
	s_waitcnt vmcnt(0)
	v_and_b32_e32 v31, 2, v0
	v_mov_b32_e32 v28, 0
	v_and_b32_e32 v2, -3, v0
	v_mov_b32_e32 v3, v1
	s_mov_b64 s[10:11], 3
	v_mov_b32_e32 v6, 2
	v_mov_b32_e32 v7, 1
	s_getpc_b64 s[6:7]
	s_add_u32 s6, s6, .str.6@rel32@lo+4
	s_addc_u32 s7, s7, .str.6@rel32@hi+12
	s_branch .LBB5_1593
.LBB5_1592:                             ;   in Loop: Header=BB5_1593 Depth=1
	s_or_b64 exec, exec, s[20:21]
	s_sub_u32 s10, s10, s16
	s_subb_u32 s11, s11, s17
	s_add_u32 s6, s6, s16
	s_addc_u32 s7, s7, s17
	s_cmp_lg_u64 s[10:11], 0
	s_cbranch_scc0 .LBB5_1674
.LBB5_1593:                             ; =>This Loop Header: Depth=1
                                        ;     Child Loop BB5_1596 Depth 2
                                        ;     Child Loop BB5_1603 Depth 2
	;; [unrolled: 1-line block ×11, first 2 shown]
	v_cmp_lt_u64_e64 s[4:5], s[10:11], 56
	v_cmp_gt_u64_e64 s[18:19], s[10:11], 7
	s_and_b64 s[4:5], s[4:5], exec
	s_cselect_b32 s17, s11, 0
	s_cselect_b32 s16, s10, 56
	s_and_b64 vcc, exec, s[18:19]
	s_cbranch_vccnz .LBB5_1598
; %bb.1594:                             ;   in Loop: Header=BB5_1593 Depth=1
	v_mov_b32_e32 v10, 0
	s_cmp_eq_u64 s[10:11], 0
	v_mov_b32_e32 v11, 0
	s_mov_b64 s[4:5], 0
	s_cbranch_scc1 .LBB5_1597
; %bb.1595:                             ;   in Loop: Header=BB5_1593 Depth=1
	v_mov_b32_e32 v10, 0
	s_lshl_b64 s[18:19], s[16:17], 3
	s_mov_b64 s[20:21], 0
	v_mov_b32_e32 v11, 0
	s_mov_b64 s[22:23], s[6:7]
.LBB5_1596:                             ;   Parent Loop BB5_1593 Depth=1
                                        ; =>  This Inner Loop Header: Depth=2
	global_load_ubyte v4, v28, s[22:23]
	s_waitcnt vmcnt(0)
	v_and_b32_e32 v27, 0xffff, v4
	v_lshlrev_b64 v[4:5], s20, v[27:28]
	s_add_u32 s20, s20, 8
	s_addc_u32 s21, s21, 0
	s_add_u32 s22, s22, 1
	s_addc_u32 s23, s23, 0
	v_or_b32_e32 v10, v4, v10
	s_cmp_lg_u32 s18, s20
	v_or_b32_e32 v11, v5, v11
	s_cbranch_scc1 .LBB5_1596
.LBB5_1597:                             ;   in Loop: Header=BB5_1593 Depth=1
	s_mov_b32 s15, 0
	s_andn2_b64 vcc, exec, s[4:5]
	s_mov_b64 s[4:5], s[6:7]
	s_cbranch_vccz .LBB5_1599
	s_branch .LBB5_1600
.LBB5_1598:                             ;   in Loop: Header=BB5_1593 Depth=1
                                        ; implicit-def: $vgpr10_vgpr11
                                        ; implicit-def: $sgpr15
	s_mov_b64 s[4:5], s[6:7]
.LBB5_1599:                             ;   in Loop: Header=BB5_1593 Depth=1
	global_load_dwordx2 v[10:11], v28, s[6:7]
	s_add_i32 s15, s16, -8
	s_add_u32 s4, s6, 8
	s_addc_u32 s5, s7, 0
.LBB5_1600:                             ;   in Loop: Header=BB5_1593 Depth=1
	s_cmp_gt_u32 s15, 7
	s_cbranch_scc1 .LBB5_1604
; %bb.1601:                             ;   in Loop: Header=BB5_1593 Depth=1
	s_cmp_eq_u32 s15, 0
	s_cbranch_scc1 .LBB5_1605
; %bb.1602:                             ;   in Loop: Header=BB5_1593 Depth=1
	v_mov_b32_e32 v12, 0
	s_mov_b64 s[18:19], 0
	v_mov_b32_e32 v13, 0
	s_mov_b64 s[20:21], 0
.LBB5_1603:                             ;   Parent Loop BB5_1593 Depth=1
                                        ; =>  This Inner Loop Header: Depth=2
	s_add_u32 s22, s4, s20
	s_addc_u32 s23, s5, s21
	global_load_ubyte v4, v28, s[22:23]
	s_add_u32 s20, s20, 1
	s_addc_u32 s21, s21, 0
	s_waitcnt vmcnt(0)
	v_and_b32_e32 v27, 0xffff, v4
	v_lshlrev_b64 v[4:5], s18, v[27:28]
	s_add_u32 s18, s18, 8
	s_addc_u32 s19, s19, 0
	v_or_b32_e32 v12, v4, v12
	s_cmp_lg_u32 s15, s20
	v_or_b32_e32 v13, v5, v13
	s_cbranch_scc1 .LBB5_1603
	s_branch .LBB5_1606
.LBB5_1604:                             ;   in Loop: Header=BB5_1593 Depth=1
                                        ; implicit-def: $vgpr12_vgpr13
                                        ; implicit-def: $sgpr22
	s_branch .LBB5_1607
.LBB5_1605:                             ;   in Loop: Header=BB5_1593 Depth=1
	v_mov_b32_e32 v12, 0
	v_mov_b32_e32 v13, 0
.LBB5_1606:                             ;   in Loop: Header=BB5_1593 Depth=1
	s_mov_b32 s22, 0
	s_cbranch_execnz .LBB5_1608
.LBB5_1607:                             ;   in Loop: Header=BB5_1593 Depth=1
	global_load_dwordx2 v[12:13], v28, s[4:5]
	s_add_i32 s22, s15, -8
	s_add_u32 s4, s4, 8
	s_addc_u32 s5, s5, 0
.LBB5_1608:                             ;   in Loop: Header=BB5_1593 Depth=1
	s_cmp_gt_u32 s22, 7
	s_cbranch_scc1 .LBB5_1612
; %bb.1609:                             ;   in Loop: Header=BB5_1593 Depth=1
	s_cmp_eq_u32 s22, 0
	s_cbranch_scc1 .LBB5_1613
; %bb.1610:                             ;   in Loop: Header=BB5_1593 Depth=1
	v_mov_b32_e32 v14, 0
	s_mov_b64 s[18:19], 0
	v_mov_b32_e32 v15, 0
	s_mov_b64 s[20:21], 0
.LBB5_1611:                             ;   Parent Loop BB5_1593 Depth=1
                                        ; =>  This Inner Loop Header: Depth=2
	s_add_u32 s24, s4, s20
	s_addc_u32 s25, s5, s21
	global_load_ubyte v4, v28, s[24:25]
	s_add_u32 s20, s20, 1
	s_addc_u32 s21, s21, 0
	s_waitcnt vmcnt(0)
	v_and_b32_e32 v27, 0xffff, v4
	v_lshlrev_b64 v[4:5], s18, v[27:28]
	s_add_u32 s18, s18, 8
	s_addc_u32 s19, s19, 0
	v_or_b32_e32 v14, v4, v14
	s_cmp_lg_u32 s22, s20
	v_or_b32_e32 v15, v5, v15
	s_cbranch_scc1 .LBB5_1611
	s_branch .LBB5_1614
.LBB5_1612:                             ;   in Loop: Header=BB5_1593 Depth=1
                                        ; implicit-def: $sgpr15
	s_branch .LBB5_1615
.LBB5_1613:                             ;   in Loop: Header=BB5_1593 Depth=1
	v_mov_b32_e32 v14, 0
	v_mov_b32_e32 v15, 0
.LBB5_1614:                             ;   in Loop: Header=BB5_1593 Depth=1
	s_mov_b32 s15, 0
	s_cbranch_execnz .LBB5_1616
.LBB5_1615:                             ;   in Loop: Header=BB5_1593 Depth=1
	global_load_dwordx2 v[14:15], v28, s[4:5]
	s_add_i32 s15, s22, -8
	s_add_u32 s4, s4, 8
	s_addc_u32 s5, s5, 0
.LBB5_1616:                             ;   in Loop: Header=BB5_1593 Depth=1
	s_cmp_gt_u32 s15, 7
	s_cbranch_scc1 .LBB5_1620
; %bb.1617:                             ;   in Loop: Header=BB5_1593 Depth=1
	s_cmp_eq_u32 s15, 0
	s_cbranch_scc1 .LBB5_1621
; %bb.1618:                             ;   in Loop: Header=BB5_1593 Depth=1
	v_mov_b32_e32 v16, 0
	s_mov_b64 s[18:19], 0
	v_mov_b32_e32 v17, 0
	s_mov_b64 s[20:21], 0
.LBB5_1619:                             ;   Parent Loop BB5_1593 Depth=1
                                        ; =>  This Inner Loop Header: Depth=2
	s_add_u32 s22, s4, s20
	s_addc_u32 s23, s5, s21
	global_load_ubyte v4, v28, s[22:23]
	s_add_u32 s20, s20, 1
	s_addc_u32 s21, s21, 0
	s_waitcnt vmcnt(0)
	v_and_b32_e32 v27, 0xffff, v4
	v_lshlrev_b64 v[4:5], s18, v[27:28]
	s_add_u32 s18, s18, 8
	s_addc_u32 s19, s19, 0
	v_or_b32_e32 v16, v4, v16
	s_cmp_lg_u32 s15, s20
	v_or_b32_e32 v17, v5, v17
	s_cbranch_scc1 .LBB5_1619
	s_branch .LBB5_1622
.LBB5_1620:                             ;   in Loop: Header=BB5_1593 Depth=1
                                        ; implicit-def: $vgpr16_vgpr17
                                        ; implicit-def: $sgpr22
	s_branch .LBB5_1623
.LBB5_1621:                             ;   in Loop: Header=BB5_1593 Depth=1
	v_mov_b32_e32 v16, 0
	v_mov_b32_e32 v17, 0
.LBB5_1622:                             ;   in Loop: Header=BB5_1593 Depth=1
	s_mov_b32 s22, 0
	s_cbranch_execnz .LBB5_1624
.LBB5_1623:                             ;   in Loop: Header=BB5_1593 Depth=1
	global_load_dwordx2 v[16:17], v28, s[4:5]
	s_add_i32 s22, s15, -8
	s_add_u32 s4, s4, 8
	s_addc_u32 s5, s5, 0
.LBB5_1624:                             ;   in Loop: Header=BB5_1593 Depth=1
	s_cmp_gt_u32 s22, 7
	s_cbranch_scc1 .LBB5_1628
; %bb.1625:                             ;   in Loop: Header=BB5_1593 Depth=1
	s_cmp_eq_u32 s22, 0
	s_cbranch_scc1 .LBB5_1629
; %bb.1626:                             ;   in Loop: Header=BB5_1593 Depth=1
	v_mov_b32_e32 v18, 0
	s_mov_b64 s[18:19], 0
	v_mov_b32_e32 v19, 0
	s_mov_b64 s[20:21], 0
.LBB5_1627:                             ;   Parent Loop BB5_1593 Depth=1
                                        ; =>  This Inner Loop Header: Depth=2
	s_add_u32 s24, s4, s20
	s_addc_u32 s25, s5, s21
	global_load_ubyte v4, v28, s[24:25]
	s_add_u32 s20, s20, 1
	s_addc_u32 s21, s21, 0
	s_waitcnt vmcnt(0)
	v_and_b32_e32 v27, 0xffff, v4
	v_lshlrev_b64 v[4:5], s18, v[27:28]
	s_add_u32 s18, s18, 8
	s_addc_u32 s19, s19, 0
	v_or_b32_e32 v18, v4, v18
	s_cmp_lg_u32 s22, s20
	v_or_b32_e32 v19, v5, v19
	s_cbranch_scc1 .LBB5_1627
	s_branch .LBB5_1630
.LBB5_1628:                             ;   in Loop: Header=BB5_1593 Depth=1
                                        ; implicit-def: $sgpr15
	s_branch .LBB5_1631
.LBB5_1629:                             ;   in Loop: Header=BB5_1593 Depth=1
	v_mov_b32_e32 v18, 0
	v_mov_b32_e32 v19, 0
.LBB5_1630:                             ;   in Loop: Header=BB5_1593 Depth=1
	s_mov_b32 s15, 0
	s_cbranch_execnz .LBB5_1632
.LBB5_1631:                             ;   in Loop: Header=BB5_1593 Depth=1
	global_load_dwordx2 v[18:19], v28, s[4:5]
	s_add_i32 s15, s22, -8
	s_add_u32 s4, s4, 8
	s_addc_u32 s5, s5, 0
.LBB5_1632:                             ;   in Loop: Header=BB5_1593 Depth=1
	s_cmp_gt_u32 s15, 7
	s_cbranch_scc1 .LBB5_1636
; %bb.1633:                             ;   in Loop: Header=BB5_1593 Depth=1
	s_cmp_eq_u32 s15, 0
	s_cbranch_scc1 .LBB5_1637
; %bb.1634:                             ;   in Loop: Header=BB5_1593 Depth=1
	v_mov_b32_e32 v20, 0
	s_mov_b64 s[18:19], 0
	v_mov_b32_e32 v21, 0
	s_mov_b64 s[20:21], 0
.LBB5_1635:                             ;   Parent Loop BB5_1593 Depth=1
                                        ; =>  This Inner Loop Header: Depth=2
	s_add_u32 s22, s4, s20
	s_addc_u32 s23, s5, s21
	global_load_ubyte v4, v28, s[22:23]
	s_add_u32 s20, s20, 1
	s_addc_u32 s21, s21, 0
	s_waitcnt vmcnt(0)
	v_and_b32_e32 v27, 0xffff, v4
	v_lshlrev_b64 v[4:5], s18, v[27:28]
	s_add_u32 s18, s18, 8
	s_addc_u32 s19, s19, 0
	v_or_b32_e32 v20, v4, v20
	s_cmp_lg_u32 s15, s20
	v_or_b32_e32 v21, v5, v21
	s_cbranch_scc1 .LBB5_1635
	s_branch .LBB5_1638
.LBB5_1636:                             ;   in Loop: Header=BB5_1593 Depth=1
                                        ; implicit-def: $vgpr20_vgpr21
                                        ; implicit-def: $sgpr22
	s_branch .LBB5_1639
.LBB5_1637:                             ;   in Loop: Header=BB5_1593 Depth=1
	v_mov_b32_e32 v20, 0
	v_mov_b32_e32 v21, 0
.LBB5_1638:                             ;   in Loop: Header=BB5_1593 Depth=1
	s_mov_b32 s22, 0
	s_cbranch_execnz .LBB5_1640
.LBB5_1639:                             ;   in Loop: Header=BB5_1593 Depth=1
	global_load_dwordx2 v[20:21], v28, s[4:5]
	s_add_i32 s22, s15, -8
	s_add_u32 s4, s4, 8
	s_addc_u32 s5, s5, 0
.LBB5_1640:                             ;   in Loop: Header=BB5_1593 Depth=1
	s_cmp_gt_u32 s22, 7
	s_cbranch_scc1 .LBB5_1644
; %bb.1641:                             ;   in Loop: Header=BB5_1593 Depth=1
	s_cmp_eq_u32 s22, 0
	s_cbranch_scc1 .LBB5_1645
; %bb.1642:                             ;   in Loop: Header=BB5_1593 Depth=1
	v_mov_b32_e32 v22, 0
	s_mov_b64 s[18:19], 0
	v_mov_b32_e32 v23, 0
	s_mov_b64 s[20:21], s[4:5]
.LBB5_1643:                             ;   Parent Loop BB5_1593 Depth=1
                                        ; =>  This Inner Loop Header: Depth=2
	global_load_ubyte v4, v28, s[20:21]
	s_add_i32 s22, s22, -1
	s_waitcnt vmcnt(0)
	v_and_b32_e32 v27, 0xffff, v4
	v_lshlrev_b64 v[4:5], s18, v[27:28]
	s_add_u32 s18, s18, 8
	s_addc_u32 s19, s19, 0
	s_add_u32 s20, s20, 1
	s_addc_u32 s21, s21, 0
	v_or_b32_e32 v22, v4, v22
	s_cmp_lg_u32 s22, 0
	v_or_b32_e32 v23, v5, v23
	s_cbranch_scc1 .LBB5_1643
	s_branch .LBB5_1646
.LBB5_1644:                             ;   in Loop: Header=BB5_1593 Depth=1
	s_branch .LBB5_1647
.LBB5_1645:                             ;   in Loop: Header=BB5_1593 Depth=1
	v_mov_b32_e32 v22, 0
	v_mov_b32_e32 v23, 0
.LBB5_1646:                             ;   in Loop: Header=BB5_1593 Depth=1
	s_cbranch_execnz .LBB5_1648
.LBB5_1647:                             ;   in Loop: Header=BB5_1593 Depth=1
	global_load_dwordx2 v[22:23], v28, s[4:5]
.LBB5_1648:                             ;   in Loop: Header=BB5_1593 Depth=1
	v_readfirstlane_b32 s4, v51
	s_waitcnt vmcnt(0)
	v_mov_b32_e32 v4, 0
	v_mov_b32_e32 v5, 0
	v_cmp_eq_u32_e64 s[4:5], s4, v51
	s_and_saveexec_b64 s[18:19], s[4:5]
	s_cbranch_execz .LBB5_1654
; %bb.1649:                             ;   in Loop: Header=BB5_1593 Depth=1
	global_load_dwordx2 v[26:27], v28, s[36:37] offset:24 glc
	s_waitcnt vmcnt(0)
	buffer_wbinvl1_vol
	global_load_dwordx2 v[4:5], v28, s[36:37] offset:40
	global_load_dwordx2 v[8:9], v28, s[36:37]
	s_waitcnt vmcnt(1)
	v_and_b32_e32 v4, v4, v26
	v_and_b32_e32 v5, v5, v27
	v_mul_lo_u32 v5, v5, 24
	v_mul_hi_u32 v24, v4, 24
	v_mul_lo_u32 v4, v4, 24
	v_add_u32_e32 v5, v24, v5
	s_waitcnt vmcnt(0)
	v_add_co_u32_e32 v4, vcc, v8, v4
	v_addc_co_u32_e32 v5, vcc, v9, v5, vcc
	global_load_dwordx2 v[24:25], v[4:5], off glc
	s_waitcnt vmcnt(0)
	global_atomic_cmpswap_x2 v[4:5], v28, v[24:27], s[36:37] offset:24 glc
	s_waitcnt vmcnt(0)
	buffer_wbinvl1_vol
	v_cmp_ne_u64_e32 vcc, v[4:5], v[26:27]
	s_and_saveexec_b64 s[20:21], vcc
	s_cbranch_execz .LBB5_1653
; %bb.1650:                             ;   in Loop: Header=BB5_1593 Depth=1
	s_mov_b64 s[22:23], 0
.LBB5_1651:                             ;   Parent Loop BB5_1593 Depth=1
                                        ; =>  This Inner Loop Header: Depth=2
	s_sleep 1
	global_load_dwordx2 v[8:9], v28, s[36:37] offset:40
	global_load_dwordx2 v[24:25], v28, s[36:37]
	v_mov_b32_e32 v27, v5
	v_mov_b32_e32 v26, v4
	s_waitcnt vmcnt(1)
	v_and_b32_e32 v4, v8, v26
	s_waitcnt vmcnt(0)
	v_mad_u64_u32 v[4:5], s[24:25], v4, 24, v[24:25]
	v_and_b32_e32 v8, v9, v27
	v_mad_u64_u32 v[8:9], s[24:25], v8, 24, v[5:6]
	v_mov_b32_e32 v5, v8
	global_load_dwordx2 v[24:25], v[4:5], off glc
	s_waitcnt vmcnt(0)
	global_atomic_cmpswap_x2 v[4:5], v28, v[24:27], s[36:37] offset:24 glc
	s_waitcnt vmcnt(0)
	buffer_wbinvl1_vol
	v_cmp_eq_u64_e32 vcc, v[4:5], v[26:27]
	s_or_b64 s[22:23], vcc, s[22:23]
	s_andn2_b64 exec, exec, s[22:23]
	s_cbranch_execnz .LBB5_1651
; %bb.1652:                             ;   in Loop: Header=BB5_1593 Depth=1
	s_or_b64 exec, exec, s[22:23]
.LBB5_1653:                             ;   in Loop: Header=BB5_1593 Depth=1
	s_or_b64 exec, exec, s[20:21]
.LBB5_1654:                             ;   in Loop: Header=BB5_1593 Depth=1
	s_or_b64 exec, exec, s[18:19]
	global_load_dwordx2 v[8:9], v28, s[36:37] offset:40
	global_load_dwordx4 v[24:27], v28, s[36:37]
	v_readfirstlane_b32 s18, v4
	v_readfirstlane_b32 s19, v5
	s_mov_b64 s[20:21], exec
	s_waitcnt vmcnt(1)
	v_readfirstlane_b32 s22, v8
	v_readfirstlane_b32 s23, v9
	s_and_b64 s[22:23], s[18:19], s[22:23]
	s_mul_i32 s15, s23, 24
	s_mul_hi_u32 s24, s22, 24
	s_mul_i32 s25, s22, 24
	s_add_i32 s15, s24, s15
	v_mov_b32_e32 v4, s15
	s_waitcnt vmcnt(0)
	v_add_co_u32_e32 v29, vcc, s25, v24
	v_addc_co_u32_e32 v30, vcc, v25, v4, vcc
	s_and_saveexec_b64 s[24:25], s[4:5]
	s_cbranch_execz .LBB5_1656
; %bb.1655:                             ;   in Loop: Header=BB5_1593 Depth=1
	v_mov_b32_e32 v4, s20
	v_mov_b32_e32 v5, s21
	global_store_dwordx4 v[29:30], v[4:7], off offset:8
.LBB5_1656:                             ;   in Loop: Header=BB5_1593 Depth=1
	s_or_b64 exec, exec, s[24:25]
	s_lshl_b64 s[20:21], s[22:23], 12
	v_mov_b32_e32 v4, s21
	v_add_co_u32_e32 v26, vcc, s20, v26
	v_addc_co_u32_e32 v32, vcc, v27, v4, vcc
	v_cmp_gt_u64_e64 vcc, s[10:11], 56
	v_or_b32_e32 v5, v2, v31
	s_lshl_b32 s15, s16, 2
	v_cndmask_b32_e32 v2, v5, v2, vcc
	s_add_i32 s15, s15, 28
	v_or_b32_e32 v4, 0, v3
	s_and_b32 s15, s15, 0x1e0
	v_and_b32_e32 v2, 0xffffff1f, v2
	v_cndmask_b32_e32 v9, v4, v3, vcc
	v_or_b32_e32 v8, s15, v2
	v_readfirstlane_b32 s20, v26
	v_readfirstlane_b32 s21, v32
	s_nop 4
	global_store_dwordx4 v50, v[8:11], s[20:21]
	global_store_dwordx4 v50, v[12:15], s[20:21] offset:16
	global_store_dwordx4 v50, v[16:19], s[20:21] offset:32
	;; [unrolled: 1-line block ×3, first 2 shown]
	s_and_saveexec_b64 s[20:21], s[4:5]
	s_cbranch_execz .LBB5_1664
; %bb.1657:                             ;   in Loop: Header=BB5_1593 Depth=1
	global_load_dwordx2 v[12:13], v28, s[36:37] offset:32 glc
	global_load_dwordx2 v[2:3], v28, s[36:37] offset:40
	v_mov_b32_e32 v10, s18
	v_mov_b32_e32 v11, s19
	s_waitcnt vmcnt(0)
	v_readfirstlane_b32 s22, v2
	v_readfirstlane_b32 s23, v3
	s_and_b64 s[22:23], s[22:23], s[18:19]
	s_mul_i32 s15, s23, 24
	s_mul_hi_u32 s23, s22, 24
	s_mul_i32 s22, s22, 24
	s_add_i32 s15, s23, s15
	v_mov_b32_e32 v2, s15
	v_add_co_u32_e32 v8, vcc, s22, v24
	v_addc_co_u32_e32 v9, vcc, v25, v2, vcc
	global_store_dwordx2 v[8:9], v[12:13], off
	s_waitcnt vmcnt(0)
	global_atomic_cmpswap_x2 v[4:5], v28, v[10:13], s[36:37] offset:32 glc
	s_waitcnt vmcnt(0)
	v_cmp_ne_u64_e32 vcc, v[4:5], v[12:13]
	s_and_saveexec_b64 s[22:23], vcc
	s_cbranch_execz .LBB5_1660
; %bb.1658:                             ;   in Loop: Header=BB5_1593 Depth=1
	s_mov_b64 s[24:25], 0
.LBB5_1659:                             ;   Parent Loop BB5_1593 Depth=1
                                        ; =>  This Inner Loop Header: Depth=2
	s_sleep 1
	global_store_dwordx2 v[8:9], v[4:5], off
	v_mov_b32_e32 v2, s18
	v_mov_b32_e32 v3, s19
	s_waitcnt vmcnt(0)
	global_atomic_cmpswap_x2 v[2:3], v28, v[2:5], s[36:37] offset:32 glc
	s_waitcnt vmcnt(0)
	v_cmp_eq_u64_e32 vcc, v[2:3], v[4:5]
	v_mov_b32_e32 v5, v3
	s_or_b64 s[24:25], vcc, s[24:25]
	v_mov_b32_e32 v4, v2
	s_andn2_b64 exec, exec, s[24:25]
	s_cbranch_execnz .LBB5_1659
.LBB5_1660:                             ;   in Loop: Header=BB5_1593 Depth=1
	s_or_b64 exec, exec, s[22:23]
	global_load_dwordx2 v[2:3], v28, s[36:37] offset:16
	s_mov_b64 s[24:25], exec
	v_mbcnt_lo_u32_b32 v4, s24, 0
	v_mbcnt_hi_u32_b32 v4, s25, v4
	v_cmp_eq_u32_e32 vcc, 0, v4
	s_and_saveexec_b64 s[22:23], vcc
	s_cbranch_execz .LBB5_1662
; %bb.1661:                             ;   in Loop: Header=BB5_1593 Depth=1
	s_bcnt1_i32_b64 s15, s[24:25]
	v_mov_b32_e32 v27, s15
	s_waitcnt vmcnt(0)
	global_atomic_add_x2 v[2:3], v[27:28], off offset:8
.LBB5_1662:                             ;   in Loop: Header=BB5_1593 Depth=1
	s_or_b64 exec, exec, s[22:23]
	s_waitcnt vmcnt(0)
	global_load_dwordx2 v[4:5], v[2:3], off offset:16
	s_waitcnt vmcnt(0)
	v_cmp_eq_u64_e32 vcc, 0, v[4:5]
	s_cbranch_vccnz .LBB5_1664
; %bb.1663:                             ;   in Loop: Header=BB5_1593 Depth=1
	global_load_dword v27, v[2:3], off offset:24
	s_waitcnt vmcnt(0)
	v_and_b32_e32 v2, 0xffffff, v27
	v_readfirstlane_b32 m0, v2
	global_store_dwordx2 v[4:5], v[27:28], off
	s_sendmsg sendmsg(MSG_INTERRUPT)
.LBB5_1664:                             ;   in Loop: Header=BB5_1593 Depth=1
	s_or_b64 exec, exec, s[20:21]
	v_add_co_u32_e32 v2, vcc, v26, v50
	v_addc_co_u32_e32 v3, vcc, 0, v32, vcc
	s_branch .LBB5_1668
.LBB5_1665:                             ;   in Loop: Header=BB5_1668 Depth=2
	s_or_b64 exec, exec, s[20:21]
	v_readfirstlane_b32 s15, v4
	s_cmp_eq_u32 s15, 0
	s_cbranch_scc1 .LBB5_1667
; %bb.1666:                             ;   in Loop: Header=BB5_1668 Depth=2
	s_sleep 1
	s_cbranch_execnz .LBB5_1668
	s_branch .LBB5_1670
.LBB5_1667:                             ;   in Loop: Header=BB5_1593 Depth=1
	s_branch .LBB5_1670
.LBB5_1668:                             ;   Parent Loop BB5_1593 Depth=1
                                        ; =>  This Inner Loop Header: Depth=2
	v_mov_b32_e32 v4, 1
	s_and_saveexec_b64 s[20:21], s[4:5]
	s_cbranch_execz .LBB5_1665
; %bb.1669:                             ;   in Loop: Header=BB5_1668 Depth=2
	global_load_dword v4, v[29:30], off offset:20 glc
	s_waitcnt vmcnt(0)
	buffer_wbinvl1_vol
	v_and_b32_e32 v4, 1, v4
	s_branch .LBB5_1665
.LBB5_1670:                             ;   in Loop: Header=BB5_1593 Depth=1
	global_load_dwordx4 v[2:5], v[2:3], off
	s_and_saveexec_b64 s[20:21], s[4:5]
	s_cbranch_execz .LBB5_1592
; %bb.1671:                             ;   in Loop: Header=BB5_1593 Depth=1
	global_load_dwordx2 v[4:5], v28, s[36:37] offset:40
	global_load_dwordx2 v[12:13], v28, s[36:37] offset:24 glc
	global_load_dwordx2 v[14:15], v28, s[36:37]
	v_mov_b32_e32 v9, s19
	s_waitcnt vmcnt(2)
	v_add_co_u32_e32 v10, vcc, 1, v4
	v_addc_co_u32_e32 v11, vcc, 0, v5, vcc
	v_add_co_u32_e32 v8, vcc, s18, v10
	v_addc_co_u32_e32 v9, vcc, v11, v9, vcc
	v_cmp_eq_u64_e32 vcc, 0, v[8:9]
	v_cndmask_b32_e32 v9, v9, v11, vcc
	v_cndmask_b32_e32 v8, v8, v10, vcc
	v_and_b32_e32 v5, v9, v5
	v_and_b32_e32 v4, v8, v4
	v_mul_lo_u32 v5, v5, 24
	v_mul_hi_u32 v11, v4, 24
	v_mul_lo_u32 v4, v4, 24
	s_waitcnt vmcnt(1)
	v_mov_b32_e32 v10, v12
	v_add_u32_e32 v5, v11, v5
	s_waitcnt vmcnt(0)
	v_add_co_u32_e32 v4, vcc, v14, v4
	v_addc_co_u32_e32 v5, vcc, v15, v5, vcc
	global_store_dwordx2 v[4:5], v[12:13], off
	v_mov_b32_e32 v11, v13
	s_waitcnt vmcnt(0)
	global_atomic_cmpswap_x2 v[10:11], v28, v[8:11], s[36:37] offset:24 glc
	s_waitcnt vmcnt(0)
	v_cmp_ne_u64_e32 vcc, v[10:11], v[12:13]
	s_and_b64 exec, exec, vcc
	s_cbranch_execz .LBB5_1592
; %bb.1672:                             ;   in Loop: Header=BB5_1593 Depth=1
	s_mov_b64 s[4:5], 0
.LBB5_1673:                             ;   Parent Loop BB5_1593 Depth=1
                                        ; =>  This Inner Loop Header: Depth=2
	s_sleep 1
	global_store_dwordx2 v[4:5], v[10:11], off
	s_waitcnt vmcnt(0)
	global_atomic_cmpswap_x2 v[12:13], v28, v[8:11], s[36:37] offset:24 glc
	s_waitcnt vmcnt(0)
	v_cmp_eq_u64_e32 vcc, v[12:13], v[10:11]
	v_mov_b32_e32 v10, v12
	s_or_b64 s[4:5], vcc, s[4:5]
	v_mov_b32_e32 v11, v13
	s_andn2_b64 exec, exec, s[4:5]
	s_cbranch_execnz .LBB5_1673
	s_branch .LBB5_1592
.LBB5_1674:
	s_branch .LBB5_1702
.LBB5_1675:
                                        ; implicit-def: $vgpr2_vgpr3
	s_cbranch_execz .LBB5_1702
; %bb.1676:
	v_readfirstlane_b32 s4, v51
	v_mov_b32_e32 v8, 0
	v_mov_b32_e32 v9, 0
	v_cmp_eq_u32_e64 s[4:5], s4, v51
	s_and_saveexec_b64 s[6:7], s[4:5]
	s_cbranch_execz .LBB5_1682
; %bb.1677:
	s_waitcnt vmcnt(0)
	v_mov_b32_e32 v2, 0
	global_load_dwordx2 v[5:6], v2, s[36:37] offset:24 glc
	s_waitcnt vmcnt(0)
	buffer_wbinvl1_vol
	global_load_dwordx2 v[3:4], v2, s[36:37] offset:40
	global_load_dwordx2 v[7:8], v2, s[36:37]
	s_waitcnt vmcnt(1)
	v_and_b32_e32 v3, v3, v5
	v_and_b32_e32 v4, v4, v6
	v_mul_lo_u32 v4, v4, 24
	v_mul_hi_u32 v9, v3, 24
	v_mul_lo_u32 v3, v3, 24
	v_add_u32_e32 v4, v9, v4
	s_waitcnt vmcnt(0)
	v_add_co_u32_e32 v3, vcc, v7, v3
	v_addc_co_u32_e32 v4, vcc, v8, v4, vcc
	global_load_dwordx2 v[3:4], v[3:4], off glc
	s_waitcnt vmcnt(0)
	global_atomic_cmpswap_x2 v[8:9], v2, v[3:6], s[36:37] offset:24 glc
	s_waitcnt vmcnt(0)
	buffer_wbinvl1_vol
	v_cmp_ne_u64_e32 vcc, v[8:9], v[5:6]
	s_and_saveexec_b64 s[10:11], vcc
	s_cbranch_execz .LBB5_1681
; %bb.1678:
	s_mov_b64 s[16:17], 0
.LBB5_1679:                             ; =>This Inner Loop Header: Depth=1
	s_sleep 1
	global_load_dwordx2 v[3:4], v2, s[36:37] offset:40
	global_load_dwordx2 v[10:11], v2, s[36:37]
	v_mov_b32_e32 v5, v8
	v_mov_b32_e32 v6, v9
	s_waitcnt vmcnt(1)
	v_and_b32_e32 v3, v3, v5
	s_waitcnt vmcnt(0)
	v_mad_u64_u32 v[7:8], s[18:19], v3, 24, v[10:11]
	v_and_b32_e32 v4, v4, v6
	v_mov_b32_e32 v3, v8
	v_mad_u64_u32 v[3:4], s[18:19], v4, 24, v[3:4]
	v_mov_b32_e32 v8, v3
	global_load_dwordx2 v[3:4], v[7:8], off glc
	s_waitcnt vmcnt(0)
	global_atomic_cmpswap_x2 v[8:9], v2, v[3:6], s[36:37] offset:24 glc
	s_waitcnt vmcnt(0)
	buffer_wbinvl1_vol
	v_cmp_eq_u64_e32 vcc, v[8:9], v[5:6]
	s_or_b64 s[16:17], vcc, s[16:17]
	s_andn2_b64 exec, exec, s[16:17]
	s_cbranch_execnz .LBB5_1679
; %bb.1680:
	s_or_b64 exec, exec, s[16:17]
.LBB5_1681:
	s_or_b64 exec, exec, s[10:11]
.LBB5_1682:
	s_or_b64 exec, exec, s[6:7]
	s_waitcnt vmcnt(0)
	v_mov_b32_e32 v2, 0
	global_load_dwordx2 v[10:11], v2, s[36:37] offset:40
	global_load_dwordx4 v[4:7], v2, s[36:37]
	v_readfirstlane_b32 s6, v8
	v_readfirstlane_b32 s7, v9
	s_mov_b64 s[10:11], exec
	s_waitcnt vmcnt(1)
	v_readfirstlane_b32 s16, v10
	v_readfirstlane_b32 s17, v11
	s_and_b64 s[16:17], s[6:7], s[16:17]
	s_mul_i32 s15, s17, 24
	s_mul_hi_u32 s18, s16, 24
	s_mul_i32 s19, s16, 24
	s_add_i32 s15, s18, s15
	v_mov_b32_e32 v3, s15
	s_waitcnt vmcnt(0)
	v_add_co_u32_e32 v8, vcc, s19, v4
	v_addc_co_u32_e32 v9, vcc, v5, v3, vcc
	s_and_saveexec_b64 s[18:19], s[4:5]
	s_cbranch_execz .LBB5_1684
; %bb.1683:
	v_mov_b32_e32 v10, s10
	v_mov_b32_e32 v11, s11
	;; [unrolled: 1-line block ×4, first 2 shown]
	global_store_dwordx4 v[8:9], v[10:13], off offset:8
.LBB5_1684:
	s_or_b64 exec, exec, s[18:19]
	s_lshl_b64 s[10:11], s[16:17], 12
	v_mov_b32_e32 v3, s11
	v_add_co_u32_e32 v10, vcc, s10, v6
	v_addc_co_u32_e32 v11, vcc, v7, v3, vcc
	s_movk_i32 s10, 0xff1f
	v_and_or_b32 v0, v0, s10, 32
	s_mov_b32 s16, 0
	v_mov_b32_e32 v3, v2
	v_readfirstlane_b32 s10, v10
	v_readfirstlane_b32 s11, v11
	v_add_co_u32_e32 v6, vcc, v10, v50
	s_mov_b32 s17, s16
	s_mov_b32 s18, s16
	;; [unrolled: 1-line block ×3, first 2 shown]
	s_nop 0
	global_store_dwordx4 v50, v[0:3], s[10:11]
	v_addc_co_u32_e32 v7, vcc, 0, v11, vcc
	v_mov_b32_e32 v0, s16
	v_mov_b32_e32 v1, s17
	;; [unrolled: 1-line block ×4, first 2 shown]
	global_store_dwordx4 v50, v[0:3], s[10:11] offset:16
	global_store_dwordx4 v50, v[0:3], s[10:11] offset:32
	global_store_dwordx4 v50, v[0:3], s[10:11] offset:48
	s_and_saveexec_b64 s[10:11], s[4:5]
	s_cbranch_execz .LBB5_1692
; %bb.1685:
	v_mov_b32_e32 v10, 0
	global_load_dwordx2 v[13:14], v10, s[36:37] offset:32 glc
	global_load_dwordx2 v[0:1], v10, s[36:37] offset:40
	v_mov_b32_e32 v11, s6
	v_mov_b32_e32 v12, s7
	s_waitcnt vmcnt(0)
	v_readfirstlane_b32 s16, v0
	v_readfirstlane_b32 s17, v1
	s_and_b64 s[16:17], s[16:17], s[6:7]
	s_mul_i32 s15, s17, 24
	s_mul_hi_u32 s17, s16, 24
	s_mul_i32 s16, s16, 24
	s_add_i32 s15, s17, s15
	v_mov_b32_e32 v0, s15
	v_add_co_u32_e32 v4, vcc, s16, v4
	v_addc_co_u32_e32 v5, vcc, v5, v0, vcc
	global_store_dwordx2 v[4:5], v[13:14], off
	s_waitcnt vmcnt(0)
	global_atomic_cmpswap_x2 v[2:3], v10, v[11:14], s[36:37] offset:32 glc
	s_waitcnt vmcnt(0)
	v_cmp_ne_u64_e32 vcc, v[2:3], v[13:14]
	s_and_saveexec_b64 s[16:17], vcc
	s_cbranch_execz .LBB5_1688
; %bb.1686:
	s_mov_b64 s[18:19], 0
.LBB5_1687:                             ; =>This Inner Loop Header: Depth=1
	s_sleep 1
	global_store_dwordx2 v[4:5], v[2:3], off
	v_mov_b32_e32 v0, s6
	v_mov_b32_e32 v1, s7
	s_waitcnt vmcnt(0)
	global_atomic_cmpswap_x2 v[0:1], v10, v[0:3], s[36:37] offset:32 glc
	s_waitcnt vmcnt(0)
	v_cmp_eq_u64_e32 vcc, v[0:1], v[2:3]
	v_mov_b32_e32 v3, v1
	s_or_b64 s[18:19], vcc, s[18:19]
	v_mov_b32_e32 v2, v0
	s_andn2_b64 exec, exec, s[18:19]
	s_cbranch_execnz .LBB5_1687
.LBB5_1688:
	s_or_b64 exec, exec, s[16:17]
	v_mov_b32_e32 v3, 0
	global_load_dwordx2 v[0:1], v3, s[36:37] offset:16
	s_mov_b64 s[16:17], exec
	v_mbcnt_lo_u32_b32 v2, s16, 0
	v_mbcnt_hi_u32_b32 v2, s17, v2
	v_cmp_eq_u32_e32 vcc, 0, v2
	s_and_saveexec_b64 s[18:19], vcc
	s_cbranch_execz .LBB5_1690
; %bb.1689:
	s_bcnt1_i32_b64 s15, s[16:17]
	v_mov_b32_e32 v2, s15
	s_waitcnt vmcnt(0)
	global_atomic_add_x2 v[0:1], v[2:3], off offset:8
.LBB5_1690:
	s_or_b64 exec, exec, s[18:19]
	s_waitcnt vmcnt(0)
	global_load_dwordx2 v[2:3], v[0:1], off offset:16
	s_waitcnt vmcnt(0)
	v_cmp_eq_u64_e32 vcc, 0, v[2:3]
	s_cbranch_vccnz .LBB5_1692
; %bb.1691:
	global_load_dword v0, v[0:1], off offset:24
	v_mov_b32_e32 v1, 0
	s_waitcnt vmcnt(0)
	global_store_dwordx2 v[2:3], v[0:1], off
	v_and_b32_e32 v0, 0xffffff, v0
	v_readfirstlane_b32 m0, v0
	s_sendmsg sendmsg(MSG_INTERRUPT)
.LBB5_1692:
	s_or_b64 exec, exec, s[10:11]
	s_branch .LBB5_1696
.LBB5_1693:                             ;   in Loop: Header=BB5_1696 Depth=1
	s_or_b64 exec, exec, s[10:11]
	v_readfirstlane_b32 s10, v0
	s_cmp_eq_u32 s10, 0
	s_cbranch_scc1 .LBB5_1695
; %bb.1694:                             ;   in Loop: Header=BB5_1696 Depth=1
	s_sleep 1
	s_cbranch_execnz .LBB5_1696
	s_branch .LBB5_1698
.LBB5_1695:
	s_branch .LBB5_1698
.LBB5_1696:                             ; =>This Inner Loop Header: Depth=1
	v_mov_b32_e32 v0, 1
	s_and_saveexec_b64 s[10:11], s[4:5]
	s_cbranch_execz .LBB5_1693
; %bb.1697:                             ;   in Loop: Header=BB5_1696 Depth=1
	global_load_dword v0, v[8:9], off offset:20 glc
	s_waitcnt vmcnt(0)
	buffer_wbinvl1_vol
	v_and_b32_e32 v0, 1, v0
	s_branch .LBB5_1693
.LBB5_1698:
	global_load_dwordx2 v[2:3], v[6:7], off
	s_and_saveexec_b64 s[10:11], s[4:5]
	s_cbranch_execz .LBB5_1701
; %bb.1699:
	v_mov_b32_e32 v8, 0
	global_load_dwordx2 v[0:1], v8, s[36:37] offset:40
	global_load_dwordx2 v[9:10], v8, s[36:37] offset:24 glc
	global_load_dwordx2 v[11:12], v8, s[36:37]
	v_mov_b32_e32 v5, s7
	s_mov_b64 s[4:5], 0
	s_waitcnt vmcnt(2)
	v_add_co_u32_e32 v6, vcc, 1, v0
	v_addc_co_u32_e32 v7, vcc, 0, v1, vcc
	v_add_co_u32_e32 v4, vcc, s6, v6
	v_addc_co_u32_e32 v5, vcc, v7, v5, vcc
	v_cmp_eq_u64_e32 vcc, 0, v[4:5]
	v_cndmask_b32_e32 v5, v5, v7, vcc
	v_cndmask_b32_e32 v4, v4, v6, vcc
	v_and_b32_e32 v1, v5, v1
	v_and_b32_e32 v0, v4, v0
	v_mul_lo_u32 v1, v1, 24
	v_mul_hi_u32 v7, v0, 24
	v_mul_lo_u32 v0, v0, 24
	s_waitcnt vmcnt(1)
	v_mov_b32_e32 v6, v9
	v_add_u32_e32 v1, v7, v1
	s_waitcnt vmcnt(0)
	v_add_co_u32_e32 v0, vcc, v11, v0
	v_addc_co_u32_e32 v1, vcc, v12, v1, vcc
	global_store_dwordx2 v[0:1], v[9:10], off
	v_mov_b32_e32 v7, v10
	s_waitcnt vmcnt(0)
	global_atomic_cmpswap_x2 v[6:7], v8, v[4:7], s[36:37] offset:24 glc
	s_waitcnt vmcnt(0)
	v_cmp_ne_u64_e32 vcc, v[6:7], v[9:10]
	s_and_b64 exec, exec, vcc
	s_cbranch_execz .LBB5_1701
.LBB5_1700:                             ; =>This Inner Loop Header: Depth=1
	s_sleep 1
	global_store_dwordx2 v[0:1], v[6:7], off
	s_waitcnt vmcnt(0)
	global_atomic_cmpswap_x2 v[9:10], v8, v[4:7], s[36:37] offset:24 glc
	s_waitcnt vmcnt(0)
	v_cmp_eq_u64_e32 vcc, v[9:10], v[6:7]
	v_mov_b32_e32 v6, v9
	s_or_b64 s[4:5], vcc, s[4:5]
	v_mov_b32_e32 v7, v10
	s_andn2_b64 exec, exec, s[4:5]
	s_cbranch_execnz .LBB5_1700
.LBB5_1701:
	s_or_b64 exec, exec, s[10:11]
.LBB5_1702:
	v_readfirstlane_b32 s4, v51
	s_waitcnt vmcnt(0)
	v_mov_b32_e32 v0, 0
	v_mov_b32_e32 v1, 0
	v_cmp_eq_u32_e64 s[4:5], s4, v51
	s_and_saveexec_b64 s[6:7], s[4:5]
	s_cbranch_execz .LBB5_1708
; %bb.1703:
	v_mov_b32_e32 v4, 0
	global_load_dwordx2 v[7:8], v4, s[36:37] offset:24 glc
	s_waitcnt vmcnt(0)
	buffer_wbinvl1_vol
	global_load_dwordx2 v[0:1], v4, s[36:37] offset:40
	global_load_dwordx2 v[5:6], v4, s[36:37]
	s_waitcnt vmcnt(1)
	v_and_b32_e32 v0, v0, v7
	v_and_b32_e32 v1, v1, v8
	v_mul_lo_u32 v1, v1, 24
	v_mul_hi_u32 v9, v0, 24
	v_mul_lo_u32 v0, v0, 24
	v_add_u32_e32 v1, v9, v1
	s_waitcnt vmcnt(0)
	v_add_co_u32_e32 v0, vcc, v5, v0
	v_addc_co_u32_e32 v1, vcc, v6, v1, vcc
	global_load_dwordx2 v[5:6], v[0:1], off glc
	s_waitcnt vmcnt(0)
	global_atomic_cmpswap_x2 v[0:1], v4, v[5:8], s[36:37] offset:24 glc
	s_waitcnt vmcnt(0)
	buffer_wbinvl1_vol
	v_cmp_ne_u64_e32 vcc, v[0:1], v[7:8]
	s_and_saveexec_b64 s[10:11], vcc
	s_cbranch_execz .LBB5_1707
; %bb.1704:
	s_mov_b64 s[16:17], 0
.LBB5_1705:                             ; =>This Inner Loop Header: Depth=1
	s_sleep 1
	global_load_dwordx2 v[5:6], v4, s[36:37] offset:40
	global_load_dwordx2 v[9:10], v4, s[36:37]
	v_mov_b32_e32 v8, v1
	v_mov_b32_e32 v7, v0
	s_waitcnt vmcnt(1)
	v_and_b32_e32 v0, v5, v7
	s_waitcnt vmcnt(0)
	v_mad_u64_u32 v[0:1], s[18:19], v0, 24, v[9:10]
	v_and_b32_e32 v5, v6, v8
	v_mad_u64_u32 v[5:6], s[18:19], v5, 24, v[1:2]
	v_mov_b32_e32 v1, v5
	global_load_dwordx2 v[5:6], v[0:1], off glc
	s_waitcnt vmcnt(0)
	global_atomic_cmpswap_x2 v[0:1], v4, v[5:8], s[36:37] offset:24 glc
	s_waitcnt vmcnt(0)
	buffer_wbinvl1_vol
	v_cmp_eq_u64_e32 vcc, v[0:1], v[7:8]
	s_or_b64 s[16:17], vcc, s[16:17]
	s_andn2_b64 exec, exec, s[16:17]
	s_cbranch_execnz .LBB5_1705
; %bb.1706:
	s_or_b64 exec, exec, s[16:17]
.LBB5_1707:
	s_or_b64 exec, exec, s[10:11]
.LBB5_1708:
	s_or_b64 exec, exec, s[6:7]
	v_mov_b32_e32 v5, 0
	global_load_dwordx2 v[10:11], v5, s[36:37] offset:40
	global_load_dwordx4 v[6:9], v5, s[36:37]
	v_readfirstlane_b32 s6, v0
	v_readfirstlane_b32 s7, v1
	s_mov_b64 s[10:11], exec
	s_waitcnt vmcnt(1)
	v_readfirstlane_b32 s16, v10
	v_readfirstlane_b32 s17, v11
	s_and_b64 s[16:17], s[6:7], s[16:17]
	s_mul_i32 s15, s17, 24
	s_mul_hi_u32 s18, s16, 24
	s_mul_i32 s19, s16, 24
	s_add_i32 s15, s18, s15
	v_mov_b32_e32 v0, s15
	s_waitcnt vmcnt(0)
	v_add_co_u32_e32 v10, vcc, s19, v6
	v_addc_co_u32_e32 v11, vcc, v7, v0, vcc
	s_and_saveexec_b64 s[18:19], s[4:5]
	s_cbranch_execz .LBB5_1710
; %bb.1709:
	v_mov_b32_e32 v13, s11
	v_mov_b32_e32 v12, s10
	;; [unrolled: 1-line block ×4, first 2 shown]
	global_store_dwordx4 v[10:11], v[12:15], off offset:8
.LBB5_1710:
	s_or_b64 exec, exec, s[18:19]
	s_lshl_b64 s[10:11], s[16:17], 12
	v_mov_b32_e32 v0, s11
	v_add_co_u32_e32 v1, vcc, s10, v8
	v_addc_co_u32_e32 v0, vcc, v9, v0, vcc
	s_movk_i32 s10, 0xff1d
	v_and_or_b32 v2, v2, s10, 34
	s_mov_b32 s16, 0
	v_mov_b32_e32 v4, 10
	v_readfirstlane_b32 s10, v1
	v_readfirstlane_b32 s11, v0
	s_mov_b32 s17, s16
	s_mov_b32 s18, s16
	;; [unrolled: 1-line block ×3, first 2 shown]
	s_nop 1
	global_store_dwordx4 v50, v[2:5], s[10:11]
	v_mov_b32_e32 v0, s16
	v_mov_b32_e32 v1, s17
	;; [unrolled: 1-line block ×4, first 2 shown]
	global_store_dwordx4 v50, v[0:3], s[10:11] offset:16
	global_store_dwordx4 v50, v[0:3], s[10:11] offset:32
	;; [unrolled: 1-line block ×3, first 2 shown]
	s_and_saveexec_b64 s[10:11], s[4:5]
	s_cbranch_execz .LBB5_1718
; %bb.1711:
	v_mov_b32_e32 v8, 0
	global_load_dwordx2 v[14:15], v8, s[36:37] offset:32 glc
	global_load_dwordx2 v[0:1], v8, s[36:37] offset:40
	v_mov_b32_e32 v12, s6
	v_mov_b32_e32 v13, s7
	s_waitcnt vmcnt(0)
	v_readfirstlane_b32 s16, v0
	v_readfirstlane_b32 s17, v1
	s_and_b64 s[16:17], s[16:17], s[6:7]
	s_mul_i32 s15, s17, 24
	s_mul_hi_u32 s17, s16, 24
	s_mul_i32 s16, s16, 24
	s_add_i32 s15, s17, s15
	v_mov_b32_e32 v0, s15
	v_add_co_u32_e32 v4, vcc, s16, v6
	v_addc_co_u32_e32 v5, vcc, v7, v0, vcc
	global_store_dwordx2 v[4:5], v[14:15], off
	s_waitcnt vmcnt(0)
	global_atomic_cmpswap_x2 v[2:3], v8, v[12:15], s[36:37] offset:32 glc
	s_waitcnt vmcnt(0)
	v_cmp_ne_u64_e32 vcc, v[2:3], v[14:15]
	s_and_saveexec_b64 s[16:17], vcc
	s_cbranch_execz .LBB5_1714
; %bb.1712:
	s_mov_b64 s[18:19], 0
.LBB5_1713:                             ; =>This Inner Loop Header: Depth=1
	s_sleep 1
	global_store_dwordx2 v[4:5], v[2:3], off
	v_mov_b32_e32 v0, s6
	v_mov_b32_e32 v1, s7
	s_waitcnt vmcnt(0)
	global_atomic_cmpswap_x2 v[0:1], v8, v[0:3], s[36:37] offset:32 glc
	s_waitcnt vmcnt(0)
	v_cmp_eq_u64_e32 vcc, v[0:1], v[2:3]
	v_mov_b32_e32 v3, v1
	s_or_b64 s[18:19], vcc, s[18:19]
	v_mov_b32_e32 v2, v0
	s_andn2_b64 exec, exec, s[18:19]
	s_cbranch_execnz .LBB5_1713
.LBB5_1714:
	s_or_b64 exec, exec, s[16:17]
	v_mov_b32_e32 v3, 0
	global_load_dwordx2 v[0:1], v3, s[36:37] offset:16
	s_mov_b64 s[16:17], exec
	v_mbcnt_lo_u32_b32 v2, s16, 0
	v_mbcnt_hi_u32_b32 v2, s17, v2
	v_cmp_eq_u32_e32 vcc, 0, v2
	s_and_saveexec_b64 s[18:19], vcc
	s_cbranch_execz .LBB5_1716
; %bb.1715:
	s_bcnt1_i32_b64 s15, s[16:17]
	v_mov_b32_e32 v2, s15
	s_waitcnt vmcnt(0)
	global_atomic_add_x2 v[0:1], v[2:3], off offset:8
.LBB5_1716:
	s_or_b64 exec, exec, s[18:19]
	s_waitcnt vmcnt(0)
	global_load_dwordx2 v[2:3], v[0:1], off offset:16
	s_waitcnt vmcnt(0)
	v_cmp_eq_u64_e32 vcc, 0, v[2:3]
	s_cbranch_vccnz .LBB5_1718
; %bb.1717:
	global_load_dword v0, v[0:1], off offset:24
	v_mov_b32_e32 v1, 0
	s_waitcnt vmcnt(0)
	global_store_dwordx2 v[2:3], v[0:1], off
	v_and_b32_e32 v0, 0xffffff, v0
	v_readfirstlane_b32 m0, v0
	s_sendmsg sendmsg(MSG_INTERRUPT)
.LBB5_1718:
	s_or_b64 exec, exec, s[10:11]
	s_branch .LBB5_1722
.LBB5_1719:                             ;   in Loop: Header=BB5_1722 Depth=1
	s_or_b64 exec, exec, s[10:11]
	v_readfirstlane_b32 s10, v0
	s_cmp_eq_u32 s10, 0
	s_cbranch_scc1 .LBB5_1721
; %bb.1720:                             ;   in Loop: Header=BB5_1722 Depth=1
	s_sleep 1
	s_cbranch_execnz .LBB5_1722
	s_branch .LBB5_1724
.LBB5_1721:
	s_branch .LBB5_1724
.LBB5_1722:                             ; =>This Inner Loop Header: Depth=1
	v_mov_b32_e32 v0, 1
	s_and_saveexec_b64 s[10:11], s[4:5]
	s_cbranch_execz .LBB5_1719
; %bb.1723:                             ;   in Loop: Header=BB5_1722 Depth=1
	global_load_dword v0, v[10:11], off offset:20 glc
	s_waitcnt vmcnt(0)
	buffer_wbinvl1_vol
	v_and_b32_e32 v0, 1, v0
	s_branch .LBB5_1719
.LBB5_1724:
	s_and_saveexec_b64 s[10:11], s[4:5]
	s_cbranch_execz .LBB5_1727
; %bb.1725:
	v_mov_b32_e32 v6, 0
	global_load_dwordx2 v[2:3], v6, s[36:37] offset:40
	global_load_dwordx2 v[7:8], v6, s[36:37] offset:24 glc
	global_load_dwordx2 v[4:5], v6, s[36:37]
	v_mov_b32_e32 v1, s7
	s_mov_b64 s[4:5], 0
	s_waitcnt vmcnt(2)
	v_add_co_u32_e32 v9, vcc, 1, v2
	v_addc_co_u32_e32 v10, vcc, 0, v3, vcc
	v_add_co_u32_e32 v0, vcc, s6, v9
	v_addc_co_u32_e32 v1, vcc, v10, v1, vcc
	v_cmp_eq_u64_e32 vcc, 0, v[0:1]
	v_cndmask_b32_e32 v1, v1, v10, vcc
	v_cndmask_b32_e32 v0, v0, v9, vcc
	v_and_b32_e32 v3, v1, v3
	v_and_b32_e32 v2, v0, v2
	v_mul_lo_u32 v3, v3, 24
	v_mul_hi_u32 v9, v2, 24
	v_mul_lo_u32 v10, v2, 24
	s_waitcnt vmcnt(1)
	v_mov_b32_e32 v2, v7
	v_add_u32_e32 v3, v9, v3
	s_waitcnt vmcnt(0)
	v_add_co_u32_e32 v4, vcc, v4, v10
	v_addc_co_u32_e32 v5, vcc, v5, v3, vcc
	global_store_dwordx2 v[4:5], v[7:8], off
	v_mov_b32_e32 v3, v8
	s_waitcnt vmcnt(0)
	global_atomic_cmpswap_x2 v[2:3], v6, v[0:3], s[36:37] offset:24 glc
	s_waitcnt vmcnt(0)
	v_cmp_ne_u64_e32 vcc, v[2:3], v[7:8]
	s_and_b64 exec, exec, vcc
	s_cbranch_execz .LBB5_1727
.LBB5_1726:                             ; =>This Inner Loop Header: Depth=1
	s_sleep 1
	global_store_dwordx2 v[4:5], v[2:3], off
	s_waitcnt vmcnt(0)
	global_atomic_cmpswap_x2 v[7:8], v6, v[0:3], s[36:37] offset:24 glc
	s_waitcnt vmcnt(0)
	v_cmp_eq_u64_e32 vcc, v[7:8], v[2:3]
	v_mov_b32_e32 v2, v7
	s_or_b64 s[4:5], vcc, s[4:5]
	v_mov_b32_e32 v3, v8
	s_andn2_b64 exec, exec, s[4:5]
	s_cbranch_execnz .LBB5_1726
.LBB5_1727:
	s_or_b64 exec, exec, s[10:11]
	flat_load_dwordx2 v[0:1], v[36:37]
	s_waitcnt vmcnt(0) lgkmcnt(0)
	flat_load_dword v2, v[0:1]
	s_waitcnt vmcnt(0) lgkmcnt(0)
	v_add_u32_e32 v2, 1, v2
	flat_store_dword v[0:1], v2
.LBB5_1728:
	s_or_b64 exec, exec, s[34:35]
	s_getpc_b64 s[4:5]
	s_add_u32 s4, s4, _ZN8migraphx4test4failEv@rel32@lo+4
	s_addc_u32 s5, s5, _ZN8migraphx4test4failEv@rel32@hi+12
	s_swappc_b64 s[30:31], s[4:5]
	; divergent unreachable
.LBB5_1729:
	s_or_b64 exec, exec, s[28:29]
	v_readlane_b32 s30, v40, 0
	v_readlane_b32 s31, v40, 1
	;; [unrolled: 1-line block ×3, first 2 shown]
	s_or_saveexec_b64 s[6:7], -1
	buffer_load_dword v40, off, s[0:3], s33 ; 4-byte Folded Reload
	s_mov_b64 exec, s[6:7]
	s_addk_i32 s32, 0xfc00
	s_mov_b32 s33, s4
	s_waitcnt vmcnt(0)
	s_setpc_b64 s[30:31]
.Lfunc_end5:
	.size	_ZN8migraphx4test12test_manager6failedINS0_10expressionINS0_14lhs_expressionIRPiNS0_3nopEEES5_NS0_5equalEEEPFvvEEEvRKT_PKcSH_SH_iT0_, .Lfunc_end5-_ZN8migraphx4test12test_manager6failedINS0_10expressionINS0_14lhs_expressionIRPiNS0_3nopEEES5_NS0_5equalEEEPFvvEEEvRKT_PKcSH_SH_iT0_
                                        ; -- End function
	.section	.AMDGPU.csdata,"",@progbits
; Function info:
; codeLenInByte = 59808
; NumSgprs: 52
; NumVgprs: 52
; ScratchSize: 16
; MemoryBound: 0
	.text
	.p2align	2                               ; -- Begin function _ZN8migraphx4testlsIKNS_13basic_printerIZNS_4coutEvEUlT_E_EEEERS3_S7_RKNS0_10expressionINS0_14lhs_expressionIRNS_5arrayIiLj3EEENS0_3nopEEESC_NS0_5equalEEE
	.type	_ZN8migraphx4testlsIKNS_13basic_printerIZNS_4coutEvEUlT_E_EEEERS3_S7_RKNS0_10expressionINS0_14lhs_expressionIRNS_5arrayIiLj3EEENS0_3nopEEESC_NS0_5equalEEE,@function
_ZN8migraphx4testlsIKNS_13basic_printerIZNS_4coutEvEUlT_E_EEEERS3_S7_RKNS0_10expressionINS0_14lhs_expressionIRNS_5arrayIiLj3EEENS0_3nopEEESC_NS0_5equalEEE: ; @_ZN8migraphx4testlsIKNS_13basic_printerIZNS_4coutEvEUlT_E_EEEERS3_S7_RKNS0_10expressionINS0_14lhs_expressionIRNS_5arrayIiLj3EEENS0_3nopEEESC_NS0_5equalEEE
; %bb.0:
	s_waitcnt vmcnt(0) expcnt(0) lgkmcnt(0)
	s_mov_b32 s4, s33
	s_mov_b32 s33, s32
	s_or_saveexec_b64 s[6:7], -1
	buffer_store_dword v41, off, s[0:3], s33 offset:4 ; 4-byte Folded Spill
	s_mov_b64 exec, s[6:7]
	v_writelane_b32 v41, s4, 9
	s_addk_i32 s32, 0x400
	buffer_store_dword v40, off, s[0:3], s33 ; 4-byte Folded Spill
	v_writelane_b32 v41, s34, 0
	v_writelane_b32 v41, s35, 1
	v_writelane_b32 v41, s36, 2
	v_writelane_b32 v41, s37, 3
	v_writelane_b32 v41, s38, 4
	v_writelane_b32 v41, s39, 5
	v_writelane_b32 v41, s40, 6
	v_writelane_b32 v41, s30, 7
	v_writelane_b32 v41, s31, 8
	v_mov_b32_e32 v37, v1
	v_mov_b32_e32 v36, v0
	flat_load_dwordx2 v[38:39], v[36:37]
	s_getpc_b64 s[4:5]
	s_add_u32 s4, s4, .str.7@rel32@lo+4
	s_addc_u32 s5, s5, .str.7@rel32@hi+12
	s_mov_b32 s35, 0
	s_cmp_lg_u64 s[4:5], 0
	v_mbcnt_lo_u32_b32 v0, -1, 0
	s_mov_b64 s[24:25], s[8:9]
	s_cselect_b64 s[26:27], -1, 0
	v_mbcnt_hi_u32_b32 v55, -1, v0
	v_mov_b32_e32 v50, 0
	s_mov_b32 s36, s35
	s_mov_b32 s37, s35
	;; [unrolled: 1-line block ×4, first 2 shown]
	s_movk_i32 s23, 0xff1f
	s_movk_i32 s40, 0xff1d
	v_mov_b32_e32 v53, 2
	v_mov_b32_e32 v54, 1
	;; [unrolled: 1-line block ×3, first 2 shown]
	s_mov_b32 s34, s35
	s_branch .LBB6_2
.LBB6_1:                                ;   in Loop: Header=BB6_2 Depth=1
	s_or_b64 exec, exec, s[8:9]
	s_add_i32 s34, s34, 1
	s_cmp_lg_u32 s34, 3
	s_cbranch_scc0 .LBB6_169
.LBB6_2:                                ; =>This Loop Header: Depth=1
                                        ;     Child Loop BB6_7 Depth 2
                                        ;     Child Loop BB6_15 Depth 2
	;; [unrolled: 1-line block ×9, first 2 shown]
                                        ;       Child Loop BB6_36 Depth 3
                                        ;       Child Loop BB6_43 Depth 3
	;; [unrolled: 1-line block ×11, first 2 shown]
                                        ;     Child Loop BB6_146 Depth 2
                                        ;     Child Loop BB6_154 Depth 2
	;; [unrolled: 1-line block ×4, first 2 shown]
	s_cmp_eq_u32 s34, 0
	s_cbranch_scc1 .LBB6_4
; %bb.3:                                ;   in Loop: Header=BB6_2 Depth=1
	s_getpc_b64 s[4:5]
	s_add_u32 s4, s4, .str.11@rel32@lo+4
	s_addc_u32 s5, s5, .str.11@rel32@hi+12
	s_mov_b64 s[8:9], s[24:25]
	v_mov_b32_e32 v0, s4
	v_mov_b32_e32 v1, s5
	s_getpc_b64 s[6:7]
	s_add_u32 s6, s6, _ZNK8migraphx13basic_printerIZNS_4coutEvEUlT_E_ElsEPKc@rel32@lo+4
	s_addc_u32 s7, s7, _ZNK8migraphx13basic_printerIZNS_4coutEvEUlT_E_ElsEPKc@rel32@hi+12
	s_swappc_b64 s[30:31], s[6:7]
.LBB6_4:                                ;   in Loop: Header=BB6_2 Depth=1
	s_lshl_b64 s[4:5], s[34:35], 2
	v_mov_b32_e32 v1, s5
	s_waitcnt vmcnt(0) lgkmcnt(0)
	v_add_co_u32_e32 v0, vcc, s4, v38
	v_addc_co_u32_e32 v1, vcc, v39, v1, vcc
	flat_load_dword v24, v[0:1]
	s_load_dwordx2 s[28:29], s[24:25], 0x50
	v_readfirstlane_b32 s4, v55
	v_mov_b32_e32 v4, 0
	v_mov_b32_e32 v5, 0
	v_cmp_eq_u32_e64 s[4:5], s4, v55
	s_and_saveexec_b64 s[6:7], s[4:5]
	s_cbranch_execz .LBB6_10
; %bb.5:                                ;   in Loop: Header=BB6_2 Depth=1
	s_waitcnt lgkmcnt(0)
	global_load_dwordx2 v[2:3], v50, s[28:29] offset:24 glc
	s_waitcnt vmcnt(0)
	buffer_wbinvl1_vol
	global_load_dwordx2 v[0:1], v50, s[28:29] offset:40
	global_load_dwordx2 v[4:5], v50, s[28:29]
	s_waitcnt vmcnt(1)
	v_and_b32_e32 v0, v0, v2
	v_and_b32_e32 v1, v1, v3
	v_mul_lo_u32 v1, v1, 24
	v_mul_hi_u32 v6, v0, 24
	v_mul_lo_u32 v0, v0, 24
	v_add_u32_e32 v1, v6, v1
	s_waitcnt vmcnt(0)
	v_add_co_u32_e32 v0, vcc, v4, v0
	v_addc_co_u32_e32 v1, vcc, v5, v1, vcc
	global_load_dwordx2 v[0:1], v[0:1], off glc
	s_waitcnt vmcnt(0)
	global_atomic_cmpswap_x2 v[4:5], v50, v[0:3], s[28:29] offset:24 glc
	s_waitcnt vmcnt(0)
	buffer_wbinvl1_vol
	v_cmp_ne_u64_e32 vcc, v[4:5], v[2:3]
	s_and_saveexec_b64 s[8:9], vcc
	s_cbranch_execz .LBB6_9
; %bb.6:                                ;   in Loop: Header=BB6_2 Depth=1
	s_mov_b64 s[10:11], 0
.LBB6_7:                                ;   Parent Loop BB6_2 Depth=1
                                        ; =>  This Inner Loop Header: Depth=2
	s_sleep 1
	global_load_dwordx2 v[0:1], v50, s[28:29] offset:40
	global_load_dwordx2 v[6:7], v50, s[28:29]
	v_mov_b32_e32 v2, v4
	v_mov_b32_e32 v3, v5
	s_waitcnt vmcnt(1)
	v_and_b32_e32 v0, v0, v2
	s_waitcnt vmcnt(0)
	v_mad_u64_u32 v[4:5], s[12:13], v0, 24, v[6:7]
	v_and_b32_e32 v1, v1, v3
	v_mov_b32_e32 v0, v5
	v_mad_u64_u32 v[0:1], s[12:13], v1, 24, v[0:1]
	v_mov_b32_e32 v5, v0
	global_load_dwordx2 v[0:1], v[4:5], off glc
	s_waitcnt vmcnt(0)
	global_atomic_cmpswap_x2 v[4:5], v50, v[0:3], s[28:29] offset:24 glc
	s_waitcnt vmcnt(0)
	buffer_wbinvl1_vol
	v_cmp_eq_u64_e32 vcc, v[4:5], v[2:3]
	s_or_b64 s[10:11], vcc, s[10:11]
	s_andn2_b64 exec, exec, s[10:11]
	s_cbranch_execnz .LBB6_7
; %bb.8:                                ;   in Loop: Header=BB6_2 Depth=1
	s_or_b64 exec, exec, s[10:11]
.LBB6_9:                                ;   in Loop: Header=BB6_2 Depth=1
	s_or_b64 exec, exec, s[8:9]
.LBB6_10:                               ;   in Loop: Header=BB6_2 Depth=1
	s_or_b64 exec, exec, s[6:7]
	s_waitcnt lgkmcnt(0)
	global_load_dwordx2 v[6:7], v50, s[28:29] offset:40
	global_load_dwordx4 v[0:3], v50, s[28:29]
	v_readfirstlane_b32 s6, v4
	v_readfirstlane_b32 s7, v5
	s_mov_b64 s[8:9], exec
	s_waitcnt vmcnt(0)
	v_readfirstlane_b32 s10, v6
	v_readfirstlane_b32 s11, v7
	s_and_b64 s[10:11], s[6:7], s[10:11]
	s_mul_i32 s12, s11, 24
	s_mul_hi_u32 s13, s10, 24
	s_mul_i32 s14, s10, 24
	s_add_i32 s12, s13, s12
	v_mov_b32_e32 v5, s12
	v_add_co_u32_e32 v4, vcc, s14, v0
	v_addc_co_u32_e32 v5, vcc, v1, v5, vcc
	s_and_saveexec_b64 s[12:13], s[4:5]
	s_cbranch_execz .LBB6_12
; %bb.11:                               ;   in Loop: Header=BB6_2 Depth=1
	v_mov_b32_e32 v52, s9
	v_mov_b32_e32 v51, s8
	global_store_dwordx4 v[4:5], v[51:54], off offset:8
.LBB6_12:                               ;   in Loop: Header=BB6_2 Depth=1
	s_or_b64 exec, exec, s[12:13]
	s_lshl_b64 s[8:9], s[10:11], 12
	v_mov_b32_e32 v6, s9
	v_add_co_u32_e32 v8, vcc, s8, v2
	v_addc_co_u32_e32 v9, vcc, v3, v6, vcc
	v_mov_b32_e32 v10, s36
	v_lshlrev_b32_e32 v40, 6, v55
	v_mov_b32_e32 v49, v50
	v_mov_b32_e32 v51, v50
	v_readfirstlane_b32 s8, v8
	v_readfirstlane_b32 s9, v9
	v_mov_b32_e32 v11, s37
	v_mov_b32_e32 v12, s38
	;; [unrolled: 1-line block ×3, first 2 shown]
	s_nop 1
	global_store_dwordx4 v40, v[48:51], s[8:9]
	global_store_dwordx4 v40, v[10:13], s[8:9] offset:16
	global_store_dwordx4 v40, v[10:13], s[8:9] offset:32
	;; [unrolled: 1-line block ×3, first 2 shown]
	s_and_saveexec_b64 s[8:9], s[4:5]
	s_cbranch_execz .LBB6_20
; %bb.13:                               ;   in Loop: Header=BB6_2 Depth=1
	global_load_dwordx2 v[12:13], v50, s[28:29] offset:32 glc
	global_load_dwordx2 v[2:3], v50, s[28:29] offset:40
	v_mov_b32_e32 v10, s6
	v_mov_b32_e32 v11, s7
	s_waitcnt vmcnt(0)
	v_and_b32_e32 v2, s6, v2
	v_and_b32_e32 v3, s7, v3
	v_mul_lo_u32 v3, v3, 24
	v_mul_hi_u32 v6, v2, 24
	v_mul_lo_u32 v2, v2, 24
	v_add_u32_e32 v3, v6, v3
	v_add_co_u32_e32 v6, vcc, v0, v2
	v_addc_co_u32_e32 v7, vcc, v1, v3, vcc
	global_store_dwordx2 v[6:7], v[12:13], off
	s_waitcnt vmcnt(0)
	global_atomic_cmpswap_x2 v[2:3], v50, v[10:13], s[28:29] offset:32 glc
	s_waitcnt vmcnt(0)
	v_cmp_ne_u64_e32 vcc, v[2:3], v[12:13]
	s_and_saveexec_b64 s[10:11], vcc
	s_cbranch_execz .LBB6_16
; %bb.14:                               ;   in Loop: Header=BB6_2 Depth=1
	s_mov_b64 s[12:13], 0
.LBB6_15:                               ;   Parent Loop BB6_2 Depth=1
                                        ; =>  This Inner Loop Header: Depth=2
	s_sleep 1
	global_store_dwordx2 v[6:7], v[2:3], off
	v_mov_b32_e32 v0, s6
	v_mov_b32_e32 v1, s7
	s_waitcnt vmcnt(0)
	global_atomic_cmpswap_x2 v[0:1], v50, v[0:3], s[28:29] offset:32 glc
	s_waitcnt vmcnt(0)
	v_cmp_eq_u64_e32 vcc, v[0:1], v[2:3]
	v_mov_b32_e32 v3, v1
	s_or_b64 s[12:13], vcc, s[12:13]
	v_mov_b32_e32 v2, v0
	s_andn2_b64 exec, exec, s[12:13]
	s_cbranch_execnz .LBB6_15
.LBB6_16:                               ;   in Loop: Header=BB6_2 Depth=1
	s_or_b64 exec, exec, s[10:11]
	global_load_dwordx2 v[0:1], v50, s[28:29] offset:16
	s_mov_b64 s[12:13], exec
	v_mbcnt_lo_u32_b32 v2, s12, 0
	v_mbcnt_hi_u32_b32 v2, s13, v2
	v_cmp_eq_u32_e32 vcc, 0, v2
	s_and_saveexec_b64 s[10:11], vcc
	s_cbranch_execz .LBB6_18
; %bb.17:                               ;   in Loop: Header=BB6_2 Depth=1
	s_bcnt1_i32_b64 s12, s[12:13]
	v_mov_b32_e32 v49, s12
	s_waitcnt vmcnt(0)
	global_atomic_add_x2 v[0:1], v[49:50], off offset:8
.LBB6_18:                               ;   in Loop: Header=BB6_2 Depth=1
	s_or_b64 exec, exec, s[10:11]
	s_waitcnt vmcnt(0)
	global_load_dwordx2 v[2:3], v[0:1], off offset:16
	s_waitcnt vmcnt(0)
	v_cmp_eq_u64_e32 vcc, 0, v[2:3]
	s_cbranch_vccnz .LBB6_20
; %bb.19:                               ;   in Loop: Header=BB6_2 Depth=1
	global_load_dword v49, v[0:1], off offset:24
	s_waitcnt vmcnt(0)
	v_and_b32_e32 v0, 0xffffff, v49
	v_readfirstlane_b32 m0, v0
	global_store_dwordx2 v[2:3], v[49:50], off
	s_sendmsg sendmsg(MSG_INTERRUPT)
.LBB6_20:                               ;   in Loop: Header=BB6_2 Depth=1
	s_or_b64 exec, exec, s[8:9]
	v_add_co_u32_e32 v0, vcc, v8, v40
	v_addc_co_u32_e32 v1, vcc, 0, v9, vcc
	s_branch .LBB6_24
.LBB6_21:                               ;   in Loop: Header=BB6_24 Depth=2
	s_or_b64 exec, exec, s[8:9]
	v_readfirstlane_b32 s8, v2
	s_cmp_eq_u32 s8, 0
	s_cbranch_scc1 .LBB6_23
; %bb.22:                               ;   in Loop: Header=BB6_24 Depth=2
	s_sleep 1
	s_cbranch_execnz .LBB6_24
	s_branch .LBB6_26
.LBB6_23:                               ;   in Loop: Header=BB6_2 Depth=1
	s_branch .LBB6_26
.LBB6_24:                               ;   Parent Loop BB6_2 Depth=1
                                        ; =>  This Inner Loop Header: Depth=2
	v_mov_b32_e32 v2, 1
	s_and_saveexec_b64 s[8:9], s[4:5]
	s_cbranch_execz .LBB6_21
; %bb.25:                               ;   in Loop: Header=BB6_24 Depth=2
	global_load_dword v2, v[4:5], off offset:20 glc
	s_waitcnt vmcnt(0)
	buffer_wbinvl1_vol
	v_and_b32_e32 v2, 1, v2
	s_branch .LBB6_21
.LBB6_26:                               ;   in Loop: Header=BB6_2 Depth=1
	global_load_dwordx2 v[0:1], v[0:1], off
	s_and_saveexec_b64 s[8:9], s[4:5]
	s_cbranch_execz .LBB6_30
; %bb.27:                               ;   in Loop: Header=BB6_2 Depth=1
	global_load_dwordx2 v[4:5], v50, s[28:29] offset:40
	global_load_dwordx2 v[8:9], v50, s[28:29] offset:24 glc
	global_load_dwordx2 v[6:7], v50, s[28:29]
	v_mov_b32_e32 v3, s7
	s_waitcnt vmcnt(2)
	v_add_co_u32_e32 v10, vcc, 1, v4
	v_addc_co_u32_e32 v11, vcc, 0, v5, vcc
	v_add_co_u32_e32 v2, vcc, s6, v10
	v_addc_co_u32_e32 v3, vcc, v11, v3, vcc
	v_cmp_eq_u64_e32 vcc, 0, v[2:3]
	v_cndmask_b32_e32 v3, v3, v11, vcc
	v_cndmask_b32_e32 v2, v2, v10, vcc
	v_and_b32_e32 v5, v3, v5
	v_and_b32_e32 v4, v2, v4
	v_mul_lo_u32 v5, v5, 24
	v_mul_hi_u32 v10, v4, 24
	v_mul_lo_u32 v11, v4, 24
	s_waitcnt vmcnt(1)
	v_mov_b32_e32 v4, v8
	v_add_u32_e32 v5, v10, v5
	s_waitcnt vmcnt(0)
	v_add_co_u32_e32 v6, vcc, v6, v11
	v_addc_co_u32_e32 v7, vcc, v7, v5, vcc
	global_store_dwordx2 v[6:7], v[8:9], off
	v_mov_b32_e32 v5, v9
	s_waitcnt vmcnt(0)
	global_atomic_cmpswap_x2 v[4:5], v50, v[2:5], s[28:29] offset:24 glc
	s_waitcnt vmcnt(0)
	v_cmp_ne_u64_e32 vcc, v[4:5], v[8:9]
	s_and_b64 exec, exec, vcc
	s_cbranch_execz .LBB6_30
; %bb.28:                               ;   in Loop: Header=BB6_2 Depth=1
	s_mov_b64 s[4:5], 0
.LBB6_29:                               ;   Parent Loop BB6_2 Depth=1
                                        ; =>  This Inner Loop Header: Depth=2
	s_sleep 1
	global_store_dwordx2 v[6:7], v[4:5], off
	s_waitcnt vmcnt(0)
	global_atomic_cmpswap_x2 v[8:9], v50, v[2:5], s[28:29] offset:24 glc
	s_waitcnt vmcnt(0)
	v_cmp_eq_u64_e32 vcc, v[8:9], v[4:5]
	v_mov_b32_e32 v4, v8
	s_or_b64 s[4:5], vcc, s[4:5]
	v_mov_b32_e32 v5, v9
	s_andn2_b64 exec, exec, s[4:5]
	s_cbranch_execnz .LBB6_29
.LBB6_30:                               ;   in Loop: Header=BB6_2 Depth=1
	s_or_b64 exec, exec, s[8:9]
	s_and_b64 vcc, exec, s[26:27]
	s_cbranch_vccz .LBB6_115
; %bb.31:                               ;   in Loop: Header=BB6_2 Depth=1
	s_waitcnt vmcnt(0)
	v_and_b32_e32 v25, 2, v0
	v_and_b32_e32 v2, -3, v0
	v_mov_b32_e32 v3, v1
	s_mov_b64 s[8:9], 4
	s_getpc_b64 s[6:7]
	s_add_u32 s6, s6, .str.7@rel32@lo+4
	s_addc_u32 s7, s7, .str.7@rel32@hi+12
	s_branch .LBB6_33
.LBB6_32:                               ;   in Loop: Header=BB6_33 Depth=2
	s_or_b64 exec, exec, s[14:15]
	s_sub_u32 s8, s8, s10
	s_subb_u32 s9, s9, s11
	s_add_u32 s6, s6, s10
	s_addc_u32 s7, s7, s11
	s_cmp_lg_u64 s[8:9], 0
	s_cbranch_scc0 .LBB6_114
.LBB6_33:                               ;   Parent Loop BB6_2 Depth=1
                                        ; =>  This Loop Header: Depth=2
                                        ;       Child Loop BB6_36 Depth 3
                                        ;       Child Loop BB6_43 Depth 3
	;; [unrolled: 1-line block ×11, first 2 shown]
	v_cmp_lt_u64_e64 s[4:5], s[8:9], 56
	v_cmp_gt_u64_e64 s[12:13], s[8:9], 7
	s_and_b64 s[4:5], s[4:5], exec
	s_cselect_b32 s11, s9, 0
	s_cselect_b32 s10, s8, 56
	s_and_b64 vcc, exec, s[12:13]
	s_cbranch_vccnz .LBB6_38
; %bb.34:                               ;   in Loop: Header=BB6_33 Depth=2
	s_waitcnt vmcnt(0)
	v_mov_b32_e32 v4, 0
	s_cmp_eq_u64 s[8:9], 0
	v_mov_b32_e32 v5, 0
	s_mov_b64 s[4:5], 0
	s_cbranch_scc1 .LBB6_37
; %bb.35:                               ;   in Loop: Header=BB6_33 Depth=2
	v_mov_b32_e32 v4, 0
	s_lshl_b64 s[12:13], s[10:11], 3
	s_mov_b64 s[14:15], 0
	v_mov_b32_e32 v5, 0
	s_mov_b64 s[16:17], s[6:7]
.LBB6_36:                               ;   Parent Loop BB6_2 Depth=1
                                        ;     Parent Loop BB6_33 Depth=2
                                        ; =>    This Inner Loop Header: Depth=3
	global_load_ubyte v6, v50, s[16:17]
	s_waitcnt vmcnt(0)
	v_and_b32_e32 v49, 0xffff, v6
	v_lshlrev_b64 v[6:7], s14, v[49:50]
	s_add_u32 s14, s14, 8
	s_addc_u32 s15, s15, 0
	s_add_u32 s16, s16, 1
	s_addc_u32 s17, s17, 0
	v_or_b32_e32 v4, v6, v4
	s_cmp_lg_u32 s12, s14
	v_or_b32_e32 v5, v7, v5
	s_cbranch_scc1 .LBB6_36
.LBB6_37:                               ;   in Loop: Header=BB6_33 Depth=2
	s_mov_b32 s16, 0
	s_andn2_b64 vcc, exec, s[4:5]
	s_mov_b64 s[4:5], s[6:7]
	s_cbranch_vccz .LBB6_39
	s_branch .LBB6_40
.LBB6_38:                               ;   in Loop: Header=BB6_33 Depth=2
                                        ; implicit-def: $vgpr4_vgpr5
                                        ; implicit-def: $sgpr16
	s_mov_b64 s[4:5], s[6:7]
.LBB6_39:                               ;   in Loop: Header=BB6_33 Depth=2
	global_load_dwordx2 v[4:5], v50, s[6:7]
	s_add_i32 s16, s10, -8
	s_add_u32 s4, s6, 8
	s_addc_u32 s5, s7, 0
.LBB6_40:                               ;   in Loop: Header=BB6_33 Depth=2
	s_cmp_gt_u32 s16, 7
	s_cbranch_scc1 .LBB6_44
; %bb.41:                               ;   in Loop: Header=BB6_33 Depth=2
	s_cmp_eq_u32 s16, 0
	s_cbranch_scc1 .LBB6_45
; %bb.42:                               ;   in Loop: Header=BB6_33 Depth=2
	v_mov_b32_e32 v6, 0
	s_mov_b64 s[12:13], 0
	v_mov_b32_e32 v7, 0
	s_mov_b64 s[14:15], 0
.LBB6_43:                               ;   Parent Loop BB6_2 Depth=1
                                        ;     Parent Loop BB6_33 Depth=2
                                        ; =>    This Inner Loop Header: Depth=3
	s_add_u32 s18, s4, s14
	s_addc_u32 s19, s5, s15
	global_load_ubyte v8, v50, s[18:19]
	s_add_u32 s14, s14, 1
	s_addc_u32 s15, s15, 0
	s_waitcnt vmcnt(0)
	v_and_b32_e32 v49, 0xffff, v8
	v_lshlrev_b64 v[8:9], s12, v[49:50]
	s_add_u32 s12, s12, 8
	s_addc_u32 s13, s13, 0
	v_or_b32_e32 v6, v8, v6
	s_cmp_lg_u32 s16, s14
	v_or_b32_e32 v7, v9, v7
	s_cbranch_scc1 .LBB6_43
	s_branch .LBB6_46
.LBB6_44:                               ;   in Loop: Header=BB6_33 Depth=2
                                        ; implicit-def: $vgpr6_vgpr7
                                        ; implicit-def: $sgpr17
	s_branch .LBB6_47
.LBB6_45:                               ;   in Loop: Header=BB6_33 Depth=2
	v_mov_b32_e32 v6, 0
	v_mov_b32_e32 v7, 0
.LBB6_46:                               ;   in Loop: Header=BB6_33 Depth=2
	s_mov_b32 s17, 0
	s_cbranch_execnz .LBB6_48
.LBB6_47:                               ;   in Loop: Header=BB6_33 Depth=2
	global_load_dwordx2 v[6:7], v50, s[4:5]
	s_add_i32 s17, s16, -8
	s_add_u32 s4, s4, 8
	s_addc_u32 s5, s5, 0
.LBB6_48:                               ;   in Loop: Header=BB6_33 Depth=2
	s_cmp_gt_u32 s17, 7
	s_cbranch_scc1 .LBB6_52
; %bb.49:                               ;   in Loop: Header=BB6_33 Depth=2
	s_cmp_eq_u32 s17, 0
	s_cbranch_scc1 .LBB6_53
; %bb.50:                               ;   in Loop: Header=BB6_33 Depth=2
	v_mov_b32_e32 v8, 0
	s_mov_b64 s[12:13], 0
	v_mov_b32_e32 v9, 0
	s_mov_b64 s[14:15], 0
.LBB6_51:                               ;   Parent Loop BB6_2 Depth=1
                                        ;     Parent Loop BB6_33 Depth=2
                                        ; =>    This Inner Loop Header: Depth=3
	s_add_u32 s18, s4, s14
	s_addc_u32 s19, s5, s15
	global_load_ubyte v10, v50, s[18:19]
	s_add_u32 s14, s14, 1
	s_addc_u32 s15, s15, 0
	s_waitcnt vmcnt(0)
	v_and_b32_e32 v49, 0xffff, v10
	v_lshlrev_b64 v[10:11], s12, v[49:50]
	s_add_u32 s12, s12, 8
	s_addc_u32 s13, s13, 0
	v_or_b32_e32 v8, v10, v8
	s_cmp_lg_u32 s17, s14
	v_or_b32_e32 v9, v11, v9
	s_cbranch_scc1 .LBB6_51
	s_branch .LBB6_54
.LBB6_52:                               ;   in Loop: Header=BB6_33 Depth=2
                                        ; implicit-def: $sgpr16
	s_branch .LBB6_55
.LBB6_53:                               ;   in Loop: Header=BB6_33 Depth=2
	v_mov_b32_e32 v8, 0
	v_mov_b32_e32 v9, 0
.LBB6_54:                               ;   in Loop: Header=BB6_33 Depth=2
	s_mov_b32 s16, 0
	s_cbranch_execnz .LBB6_56
.LBB6_55:                               ;   in Loop: Header=BB6_33 Depth=2
	global_load_dwordx2 v[8:9], v50, s[4:5]
	s_add_i32 s16, s17, -8
	s_add_u32 s4, s4, 8
	s_addc_u32 s5, s5, 0
.LBB6_56:                               ;   in Loop: Header=BB6_33 Depth=2
	s_cmp_gt_u32 s16, 7
	s_cbranch_scc1 .LBB6_60
; %bb.57:                               ;   in Loop: Header=BB6_33 Depth=2
	s_cmp_eq_u32 s16, 0
	s_cbranch_scc1 .LBB6_61
; %bb.58:                               ;   in Loop: Header=BB6_33 Depth=2
	v_mov_b32_e32 v10, 0
	s_mov_b64 s[12:13], 0
	v_mov_b32_e32 v11, 0
	s_mov_b64 s[14:15], 0
.LBB6_59:                               ;   Parent Loop BB6_2 Depth=1
                                        ;     Parent Loop BB6_33 Depth=2
                                        ; =>    This Inner Loop Header: Depth=3
	s_add_u32 s18, s4, s14
	s_addc_u32 s19, s5, s15
	global_load_ubyte v12, v50, s[18:19]
	s_add_u32 s14, s14, 1
	s_addc_u32 s15, s15, 0
	s_waitcnt vmcnt(0)
	v_and_b32_e32 v49, 0xffff, v12
	v_lshlrev_b64 v[12:13], s12, v[49:50]
	s_add_u32 s12, s12, 8
	s_addc_u32 s13, s13, 0
	v_or_b32_e32 v10, v12, v10
	s_cmp_lg_u32 s16, s14
	v_or_b32_e32 v11, v13, v11
	s_cbranch_scc1 .LBB6_59
	s_branch .LBB6_62
.LBB6_60:                               ;   in Loop: Header=BB6_33 Depth=2
                                        ; implicit-def: $vgpr10_vgpr11
                                        ; implicit-def: $sgpr17
	s_branch .LBB6_63
.LBB6_61:                               ;   in Loop: Header=BB6_33 Depth=2
	v_mov_b32_e32 v10, 0
	v_mov_b32_e32 v11, 0
.LBB6_62:                               ;   in Loop: Header=BB6_33 Depth=2
	s_mov_b32 s17, 0
	s_cbranch_execnz .LBB6_64
.LBB6_63:                               ;   in Loop: Header=BB6_33 Depth=2
	global_load_dwordx2 v[10:11], v50, s[4:5]
	s_add_i32 s17, s16, -8
	s_add_u32 s4, s4, 8
	s_addc_u32 s5, s5, 0
.LBB6_64:                               ;   in Loop: Header=BB6_33 Depth=2
	s_cmp_gt_u32 s17, 7
	s_cbranch_scc1 .LBB6_68
; %bb.65:                               ;   in Loop: Header=BB6_33 Depth=2
	s_cmp_eq_u32 s17, 0
	s_cbranch_scc1 .LBB6_69
; %bb.66:                               ;   in Loop: Header=BB6_33 Depth=2
	v_mov_b32_e32 v12, 0
	s_mov_b64 s[12:13], 0
	v_mov_b32_e32 v13, 0
	s_mov_b64 s[14:15], 0
.LBB6_67:                               ;   Parent Loop BB6_2 Depth=1
                                        ;     Parent Loop BB6_33 Depth=2
                                        ; =>    This Inner Loop Header: Depth=3
	s_add_u32 s18, s4, s14
	s_addc_u32 s19, s5, s15
	global_load_ubyte v14, v50, s[18:19]
	s_add_u32 s14, s14, 1
	s_addc_u32 s15, s15, 0
	s_waitcnt vmcnt(0)
	v_and_b32_e32 v49, 0xffff, v14
	v_lshlrev_b64 v[14:15], s12, v[49:50]
	s_add_u32 s12, s12, 8
	s_addc_u32 s13, s13, 0
	v_or_b32_e32 v12, v14, v12
	s_cmp_lg_u32 s17, s14
	v_or_b32_e32 v13, v15, v13
	s_cbranch_scc1 .LBB6_67
	s_branch .LBB6_70
.LBB6_68:                               ;   in Loop: Header=BB6_33 Depth=2
                                        ; implicit-def: $sgpr16
	s_branch .LBB6_71
.LBB6_69:                               ;   in Loop: Header=BB6_33 Depth=2
	v_mov_b32_e32 v12, 0
	v_mov_b32_e32 v13, 0
.LBB6_70:                               ;   in Loop: Header=BB6_33 Depth=2
	s_mov_b32 s16, 0
	s_cbranch_execnz .LBB6_72
.LBB6_71:                               ;   in Loop: Header=BB6_33 Depth=2
	global_load_dwordx2 v[12:13], v50, s[4:5]
	s_add_i32 s16, s17, -8
	s_add_u32 s4, s4, 8
	s_addc_u32 s5, s5, 0
.LBB6_72:                               ;   in Loop: Header=BB6_33 Depth=2
	s_cmp_gt_u32 s16, 7
	s_cbranch_scc1 .LBB6_76
; %bb.73:                               ;   in Loop: Header=BB6_33 Depth=2
	s_cmp_eq_u32 s16, 0
	s_cbranch_scc1 .LBB6_77
; %bb.74:                               ;   in Loop: Header=BB6_33 Depth=2
	v_mov_b32_e32 v14, 0
	s_mov_b64 s[12:13], 0
	v_mov_b32_e32 v15, 0
	s_mov_b64 s[14:15], 0
.LBB6_75:                               ;   Parent Loop BB6_2 Depth=1
                                        ;     Parent Loop BB6_33 Depth=2
                                        ; =>    This Inner Loop Header: Depth=3
	s_add_u32 s18, s4, s14
	s_addc_u32 s19, s5, s15
	global_load_ubyte v16, v50, s[18:19]
	s_add_u32 s14, s14, 1
	s_addc_u32 s15, s15, 0
	s_waitcnt vmcnt(0)
	v_and_b32_e32 v49, 0xffff, v16
	v_lshlrev_b64 v[16:17], s12, v[49:50]
	s_add_u32 s12, s12, 8
	s_addc_u32 s13, s13, 0
	v_or_b32_e32 v14, v16, v14
	s_cmp_lg_u32 s16, s14
	v_or_b32_e32 v15, v17, v15
	s_cbranch_scc1 .LBB6_75
	s_branch .LBB6_78
.LBB6_76:                               ;   in Loop: Header=BB6_33 Depth=2
                                        ; implicit-def: $vgpr14_vgpr15
                                        ; implicit-def: $sgpr17
	s_branch .LBB6_79
.LBB6_77:                               ;   in Loop: Header=BB6_33 Depth=2
	v_mov_b32_e32 v14, 0
	v_mov_b32_e32 v15, 0
.LBB6_78:                               ;   in Loop: Header=BB6_33 Depth=2
	s_mov_b32 s17, 0
	s_cbranch_execnz .LBB6_80
.LBB6_79:                               ;   in Loop: Header=BB6_33 Depth=2
	global_load_dwordx2 v[14:15], v50, s[4:5]
	s_add_i32 s17, s16, -8
	s_add_u32 s4, s4, 8
	s_addc_u32 s5, s5, 0
.LBB6_80:                               ;   in Loop: Header=BB6_33 Depth=2
	s_cmp_gt_u32 s17, 7
	s_cbranch_scc1 .LBB6_84
; %bb.81:                               ;   in Loop: Header=BB6_33 Depth=2
	s_cmp_eq_u32 s17, 0
	s_cbranch_scc1 .LBB6_85
; %bb.82:                               ;   in Loop: Header=BB6_33 Depth=2
	v_mov_b32_e32 v16, 0
	s_mov_b64 s[12:13], 0
	v_mov_b32_e32 v17, 0
	s_mov_b64 s[14:15], s[4:5]
.LBB6_83:                               ;   Parent Loop BB6_2 Depth=1
                                        ;     Parent Loop BB6_33 Depth=2
                                        ; =>    This Inner Loop Header: Depth=3
	global_load_ubyte v18, v50, s[14:15]
	s_add_i32 s17, s17, -1
	s_waitcnt vmcnt(0)
	v_and_b32_e32 v49, 0xffff, v18
	v_lshlrev_b64 v[18:19], s12, v[49:50]
	s_add_u32 s12, s12, 8
	s_addc_u32 s13, s13, 0
	s_add_u32 s14, s14, 1
	s_addc_u32 s15, s15, 0
	v_or_b32_e32 v16, v18, v16
	s_cmp_lg_u32 s17, 0
	v_or_b32_e32 v17, v19, v17
	s_cbranch_scc1 .LBB6_83
	s_branch .LBB6_86
.LBB6_84:                               ;   in Loop: Header=BB6_33 Depth=2
	s_branch .LBB6_87
.LBB6_85:                               ;   in Loop: Header=BB6_33 Depth=2
	v_mov_b32_e32 v16, 0
	v_mov_b32_e32 v17, 0
.LBB6_86:                               ;   in Loop: Header=BB6_33 Depth=2
	s_cbranch_execnz .LBB6_88
.LBB6_87:                               ;   in Loop: Header=BB6_33 Depth=2
	global_load_dwordx2 v[16:17], v50, s[4:5]
.LBB6_88:                               ;   in Loop: Header=BB6_33 Depth=2
	v_readfirstlane_b32 s4, v55
	v_mov_b32_e32 v22, 0
	v_mov_b32_e32 v23, 0
	v_cmp_eq_u32_e64 s[4:5], s4, v55
	s_and_saveexec_b64 s[12:13], s[4:5]
	s_cbranch_execz .LBB6_94
; %bb.89:                               ;   in Loop: Header=BB6_33 Depth=2
	global_load_dwordx2 v[20:21], v50, s[28:29] offset:24 glc
	s_waitcnt vmcnt(0)
	buffer_wbinvl1_vol
	global_load_dwordx2 v[18:19], v50, s[28:29] offset:40
	global_load_dwordx2 v[22:23], v50, s[28:29]
	s_waitcnt vmcnt(1)
	v_and_b32_e32 v18, v18, v20
	v_and_b32_e32 v19, v19, v21
	v_mul_lo_u32 v19, v19, 24
	v_mul_hi_u32 v26, v18, 24
	v_mul_lo_u32 v18, v18, 24
	v_add_u32_e32 v19, v26, v19
	s_waitcnt vmcnt(0)
	v_add_co_u32_e32 v18, vcc, v22, v18
	v_addc_co_u32_e32 v19, vcc, v23, v19, vcc
	global_load_dwordx2 v[18:19], v[18:19], off glc
	s_waitcnt vmcnt(0)
	global_atomic_cmpswap_x2 v[22:23], v50, v[18:21], s[28:29] offset:24 glc
	s_waitcnt vmcnt(0)
	buffer_wbinvl1_vol
	v_cmp_ne_u64_e32 vcc, v[22:23], v[20:21]
	s_and_saveexec_b64 s[14:15], vcc
	s_cbranch_execz .LBB6_93
; %bb.90:                               ;   in Loop: Header=BB6_33 Depth=2
	s_mov_b64 s[16:17], 0
.LBB6_91:                               ;   Parent Loop BB6_2 Depth=1
                                        ;     Parent Loop BB6_33 Depth=2
                                        ; =>    This Inner Loop Header: Depth=3
	s_sleep 1
	global_load_dwordx2 v[18:19], v50, s[28:29] offset:40
	global_load_dwordx2 v[26:27], v50, s[28:29]
	v_mov_b32_e32 v20, v22
	v_mov_b32_e32 v21, v23
	s_waitcnt vmcnt(1)
	v_and_b32_e32 v18, v18, v20
	s_waitcnt vmcnt(0)
	v_mad_u64_u32 v[22:23], s[18:19], v18, 24, v[26:27]
	v_and_b32_e32 v19, v19, v21
	v_mov_b32_e32 v18, v23
	v_mad_u64_u32 v[18:19], s[18:19], v19, 24, v[18:19]
	v_mov_b32_e32 v23, v18
	global_load_dwordx2 v[18:19], v[22:23], off glc
	s_waitcnt vmcnt(0)
	global_atomic_cmpswap_x2 v[22:23], v50, v[18:21], s[28:29] offset:24 glc
	s_waitcnt vmcnt(0)
	buffer_wbinvl1_vol
	v_cmp_eq_u64_e32 vcc, v[22:23], v[20:21]
	s_or_b64 s[16:17], vcc, s[16:17]
	s_andn2_b64 exec, exec, s[16:17]
	s_cbranch_execnz .LBB6_91
; %bb.92:                               ;   in Loop: Header=BB6_33 Depth=2
	s_or_b64 exec, exec, s[16:17]
.LBB6_93:                               ;   in Loop: Header=BB6_33 Depth=2
	s_or_b64 exec, exec, s[14:15]
.LBB6_94:                               ;   in Loop: Header=BB6_33 Depth=2
	s_or_b64 exec, exec, s[12:13]
	global_load_dwordx2 v[26:27], v50, s[28:29] offset:40
	global_load_dwordx4 v[18:21], v50, s[28:29]
	v_readfirstlane_b32 s12, v22
	v_readfirstlane_b32 s13, v23
	s_mov_b64 s[14:15], exec
	s_waitcnt vmcnt(1)
	v_readfirstlane_b32 s16, v26
	v_readfirstlane_b32 s17, v27
	s_and_b64 s[16:17], s[12:13], s[16:17]
	s_mul_i32 s18, s17, 24
	s_mul_hi_u32 s19, s16, 24
	s_mul_i32 s20, s16, 24
	s_add_i32 s18, s19, s18
	v_mov_b32_e32 v23, s18
	s_waitcnt vmcnt(0)
	v_add_co_u32_e32 v22, vcc, s20, v18
	v_addc_co_u32_e32 v23, vcc, v19, v23, vcc
	s_and_saveexec_b64 s[18:19], s[4:5]
	s_cbranch_execz .LBB6_96
; %bb.95:                               ;   in Loop: Header=BB6_33 Depth=2
	v_mov_b32_e32 v52, s15
	v_mov_b32_e32 v51, s14
	global_store_dwordx4 v[22:23], v[51:54], off offset:8
.LBB6_96:                               ;   in Loop: Header=BB6_33 Depth=2
	s_or_b64 exec, exec, s[18:19]
	s_lshl_b64 s[14:15], s[16:17], 12
	v_mov_b32_e32 v26, s15
	v_add_co_u32_e32 v20, vcc, s14, v20
	v_addc_co_u32_e32 v21, vcc, v21, v26, vcc
	v_cmp_gt_u64_e64 vcc, s[8:9], 56
	v_or_b32_e32 v27, v2, v25
	s_lshl_b32 s14, s10, 2
	v_cndmask_b32_e32 v2, v27, v2, vcc
	s_add_i32 s14, s14, 28
	v_or_b32_e32 v26, 0, v3
	s_and_b32 s14, s14, 0x1e0
	v_and_b32_e32 v2, 0xffffff1f, v2
	v_cndmask_b32_e32 v3, v26, v3, vcc
	v_or_b32_e32 v2, s14, v2
	v_lshlrev_b32_e32 v26, 6, v55
	v_readfirstlane_b32 s14, v20
	v_readfirstlane_b32 s15, v21
	s_nop 4
	global_store_dwordx4 v26, v[2:5], s[14:15]
	global_store_dwordx4 v26, v[6:9], s[14:15] offset:16
	global_store_dwordx4 v26, v[10:13], s[14:15] offset:32
	;; [unrolled: 1-line block ×3, first 2 shown]
	s_and_saveexec_b64 s[14:15], s[4:5]
	s_cbranch_execz .LBB6_104
; %bb.97:                               ;   in Loop: Header=BB6_33 Depth=2
	global_load_dwordx2 v[10:11], v50, s[28:29] offset:32 glc
	global_load_dwordx2 v[2:3], v50, s[28:29] offset:40
	v_mov_b32_e32 v8, s12
	v_mov_b32_e32 v9, s13
	s_waitcnt vmcnt(0)
	v_readfirstlane_b32 s16, v2
	v_readfirstlane_b32 s17, v3
	s_and_b64 s[16:17], s[16:17], s[12:13]
	s_mul_i32 s17, s17, 24
	s_mul_hi_u32 s18, s16, 24
	s_mul_i32 s16, s16, 24
	s_add_i32 s17, s18, s17
	v_mov_b32_e32 v2, s17
	v_add_co_u32_e32 v6, vcc, s16, v18
	v_addc_co_u32_e32 v7, vcc, v19, v2, vcc
	global_store_dwordx2 v[6:7], v[10:11], off
	s_waitcnt vmcnt(0)
	global_atomic_cmpswap_x2 v[4:5], v50, v[8:11], s[28:29] offset:32 glc
	s_waitcnt vmcnt(0)
	v_cmp_ne_u64_e32 vcc, v[4:5], v[10:11]
	s_and_saveexec_b64 s[16:17], vcc
	s_cbranch_execz .LBB6_100
; %bb.98:                               ;   in Loop: Header=BB6_33 Depth=2
	s_mov_b64 s[18:19], 0
.LBB6_99:                               ;   Parent Loop BB6_2 Depth=1
                                        ;     Parent Loop BB6_33 Depth=2
                                        ; =>    This Inner Loop Header: Depth=3
	s_sleep 1
	global_store_dwordx2 v[6:7], v[4:5], off
	v_mov_b32_e32 v2, s12
	v_mov_b32_e32 v3, s13
	s_waitcnt vmcnt(0)
	global_atomic_cmpswap_x2 v[2:3], v50, v[2:5], s[28:29] offset:32 glc
	s_waitcnt vmcnt(0)
	v_cmp_eq_u64_e32 vcc, v[2:3], v[4:5]
	v_mov_b32_e32 v5, v3
	s_or_b64 s[18:19], vcc, s[18:19]
	v_mov_b32_e32 v4, v2
	s_andn2_b64 exec, exec, s[18:19]
	s_cbranch_execnz .LBB6_99
.LBB6_100:                              ;   in Loop: Header=BB6_33 Depth=2
	s_or_b64 exec, exec, s[16:17]
	global_load_dwordx2 v[2:3], v50, s[28:29] offset:16
	s_mov_b64 s[18:19], exec
	v_mbcnt_lo_u32_b32 v4, s18, 0
	v_mbcnt_hi_u32_b32 v4, s19, v4
	v_cmp_eq_u32_e32 vcc, 0, v4
	s_and_saveexec_b64 s[16:17], vcc
	s_cbranch_execz .LBB6_102
; %bb.101:                              ;   in Loop: Header=BB6_33 Depth=2
	s_bcnt1_i32_b64 s18, s[18:19]
	v_mov_b32_e32 v49, s18
	s_waitcnt vmcnt(0)
	global_atomic_add_x2 v[2:3], v[49:50], off offset:8
.LBB6_102:                              ;   in Loop: Header=BB6_33 Depth=2
	s_or_b64 exec, exec, s[16:17]
	s_waitcnt vmcnt(0)
	global_load_dwordx2 v[4:5], v[2:3], off offset:16
	s_waitcnt vmcnt(0)
	v_cmp_eq_u64_e32 vcc, 0, v[4:5]
	s_cbranch_vccnz .LBB6_104
; %bb.103:                              ;   in Loop: Header=BB6_33 Depth=2
	global_load_dword v49, v[2:3], off offset:24
	s_waitcnt vmcnt(0)
	v_and_b32_e32 v2, 0xffffff, v49
	v_readfirstlane_b32 m0, v2
	global_store_dwordx2 v[4:5], v[49:50], off
	s_sendmsg sendmsg(MSG_INTERRUPT)
.LBB6_104:                              ;   in Loop: Header=BB6_33 Depth=2
	s_or_b64 exec, exec, s[14:15]
	v_add_co_u32_e32 v2, vcc, v20, v26
	v_addc_co_u32_e32 v3, vcc, 0, v21, vcc
	s_branch .LBB6_108
.LBB6_105:                              ;   in Loop: Header=BB6_108 Depth=3
	s_or_b64 exec, exec, s[14:15]
	v_readfirstlane_b32 s14, v4
	s_cmp_eq_u32 s14, 0
	s_cbranch_scc1 .LBB6_107
; %bb.106:                              ;   in Loop: Header=BB6_108 Depth=3
	s_sleep 1
	s_cbranch_execnz .LBB6_108
	s_branch .LBB6_110
.LBB6_107:                              ;   in Loop: Header=BB6_33 Depth=2
	s_branch .LBB6_110
.LBB6_108:                              ;   Parent Loop BB6_2 Depth=1
                                        ;     Parent Loop BB6_33 Depth=2
                                        ; =>    This Inner Loop Header: Depth=3
	v_mov_b32_e32 v4, 1
	s_and_saveexec_b64 s[14:15], s[4:5]
	s_cbranch_execz .LBB6_105
; %bb.109:                              ;   in Loop: Header=BB6_108 Depth=3
	global_load_dword v4, v[22:23], off offset:20 glc
	s_waitcnt vmcnt(0)
	buffer_wbinvl1_vol
	v_and_b32_e32 v4, 1, v4
	s_branch .LBB6_105
.LBB6_110:                              ;   in Loop: Header=BB6_33 Depth=2
	global_load_dwordx4 v[2:5], v[2:3], off
	s_and_saveexec_b64 s[14:15], s[4:5]
	s_cbranch_execz .LBB6_32
; %bb.111:                              ;   in Loop: Header=BB6_33 Depth=2
	global_load_dwordx2 v[6:7], v50, s[28:29] offset:40
	global_load_dwordx2 v[10:11], v50, s[28:29] offset:24 glc
	global_load_dwordx2 v[8:9], v50, s[28:29]
	s_waitcnt vmcnt(3)
	v_mov_b32_e32 v5, s13
	s_waitcnt vmcnt(2)
	v_add_co_u32_e32 v12, vcc, 1, v6
	v_addc_co_u32_e32 v13, vcc, 0, v7, vcc
	v_add_co_u32_e32 v4, vcc, s12, v12
	v_addc_co_u32_e32 v5, vcc, v13, v5, vcc
	v_cmp_eq_u64_e32 vcc, 0, v[4:5]
	v_cndmask_b32_e32 v5, v5, v13, vcc
	v_cndmask_b32_e32 v4, v4, v12, vcc
	v_and_b32_e32 v7, v5, v7
	v_and_b32_e32 v6, v4, v6
	v_mul_lo_u32 v7, v7, 24
	v_mul_hi_u32 v12, v6, 24
	v_mul_lo_u32 v13, v6, 24
	s_waitcnt vmcnt(1)
	v_mov_b32_e32 v6, v10
	v_add_u32_e32 v7, v12, v7
	s_waitcnt vmcnt(0)
	v_add_co_u32_e32 v8, vcc, v8, v13
	v_addc_co_u32_e32 v9, vcc, v9, v7, vcc
	global_store_dwordx2 v[8:9], v[10:11], off
	v_mov_b32_e32 v7, v11
	s_waitcnt vmcnt(0)
	global_atomic_cmpswap_x2 v[6:7], v50, v[4:7], s[28:29] offset:24 glc
	s_waitcnt vmcnt(0)
	v_cmp_ne_u64_e32 vcc, v[6:7], v[10:11]
	s_and_b64 exec, exec, vcc
	s_cbranch_execz .LBB6_32
; %bb.112:                              ;   in Loop: Header=BB6_33 Depth=2
	s_mov_b64 s[4:5], 0
.LBB6_113:                              ;   Parent Loop BB6_2 Depth=1
                                        ;     Parent Loop BB6_33 Depth=2
                                        ; =>    This Inner Loop Header: Depth=3
	s_sleep 1
	global_store_dwordx2 v[8:9], v[6:7], off
	s_waitcnt vmcnt(0)
	global_atomic_cmpswap_x2 v[10:11], v50, v[4:7], s[28:29] offset:24 glc
	s_waitcnt vmcnt(0)
	v_cmp_eq_u64_e32 vcc, v[10:11], v[6:7]
	v_mov_b32_e32 v6, v10
	s_or_b64 s[4:5], vcc, s[4:5]
	v_mov_b32_e32 v7, v11
	s_andn2_b64 exec, exec, s[4:5]
	s_cbranch_execnz .LBB6_113
	s_branch .LBB6_32
.LBB6_114:                              ;   in Loop: Header=BB6_2 Depth=1
	s_branch .LBB6_143
.LBB6_115:                              ;   in Loop: Header=BB6_2 Depth=1
                                        ; implicit-def: $vgpr2_vgpr3
	s_cbranch_execz .LBB6_143
; %bb.116:                              ;   in Loop: Header=BB6_2 Depth=1
	v_readfirstlane_b32 s4, v55
	s_waitcnt vmcnt(0)
	v_mov_b32_e32 v2, 0
	v_mov_b32_e32 v3, 0
	v_cmp_eq_u32_e64 s[4:5], s4, v55
	s_and_saveexec_b64 s[6:7], s[4:5]
	s_cbranch_execz .LBB6_122
; %bb.117:                              ;   in Loop: Header=BB6_2 Depth=1
	global_load_dwordx2 v[4:5], v50, s[28:29] offset:24 glc
	s_waitcnt vmcnt(0)
	buffer_wbinvl1_vol
	global_load_dwordx2 v[2:3], v50, s[28:29] offset:40
	global_load_dwordx2 v[6:7], v50, s[28:29]
	s_waitcnt vmcnt(1)
	v_and_b32_e32 v2, v2, v4
	v_and_b32_e32 v3, v3, v5
	v_mul_lo_u32 v3, v3, 24
	v_mul_hi_u32 v8, v2, 24
	v_mul_lo_u32 v2, v2, 24
	v_add_u32_e32 v3, v8, v3
	s_waitcnt vmcnt(0)
	v_add_co_u32_e32 v2, vcc, v6, v2
	v_addc_co_u32_e32 v3, vcc, v7, v3, vcc
	global_load_dwordx2 v[2:3], v[2:3], off glc
	s_waitcnt vmcnt(0)
	global_atomic_cmpswap_x2 v[2:3], v50, v[2:5], s[28:29] offset:24 glc
	s_waitcnt vmcnt(0)
	buffer_wbinvl1_vol
	v_cmp_ne_u64_e32 vcc, v[2:3], v[4:5]
	s_and_saveexec_b64 s[8:9], vcc
	s_cbranch_execz .LBB6_121
; %bb.118:                              ;   in Loop: Header=BB6_2 Depth=1
	s_mov_b64 s[10:11], 0
.LBB6_119:                              ;   Parent Loop BB6_2 Depth=1
                                        ; =>  This Inner Loop Header: Depth=2
	s_sleep 1
	global_load_dwordx2 v[6:7], v50, s[28:29] offset:40
	global_load_dwordx2 v[8:9], v50, s[28:29]
	v_mov_b32_e32 v5, v3
	v_mov_b32_e32 v4, v2
	s_waitcnt vmcnt(1)
	v_and_b32_e32 v2, v6, v4
	s_waitcnt vmcnt(0)
	v_mad_u64_u32 v[2:3], s[12:13], v2, 24, v[8:9]
	v_and_b32_e32 v6, v7, v5
	v_mad_u64_u32 v[6:7], s[12:13], v6, 24, v[3:4]
	v_mov_b32_e32 v3, v6
	global_load_dwordx2 v[2:3], v[2:3], off glc
	s_waitcnt vmcnt(0)
	global_atomic_cmpswap_x2 v[2:3], v50, v[2:5], s[28:29] offset:24 glc
	s_waitcnt vmcnt(0)
	buffer_wbinvl1_vol
	v_cmp_eq_u64_e32 vcc, v[2:3], v[4:5]
	s_or_b64 s[10:11], vcc, s[10:11]
	s_andn2_b64 exec, exec, s[10:11]
	s_cbranch_execnz .LBB6_119
; %bb.120:                              ;   in Loop: Header=BB6_2 Depth=1
	s_or_b64 exec, exec, s[10:11]
.LBB6_121:                              ;   in Loop: Header=BB6_2 Depth=1
	s_or_b64 exec, exec, s[8:9]
.LBB6_122:                              ;   in Loop: Header=BB6_2 Depth=1
	s_or_b64 exec, exec, s[6:7]
	global_load_dwordx2 v[8:9], v50, s[28:29] offset:40
	global_load_dwordx4 v[4:7], v50, s[28:29]
	v_readfirstlane_b32 s6, v2
	v_readfirstlane_b32 s7, v3
	s_mov_b64 s[8:9], exec
	s_waitcnt vmcnt(1)
	v_readfirstlane_b32 s10, v8
	v_readfirstlane_b32 s11, v9
	s_and_b64 s[10:11], s[6:7], s[10:11]
	s_mul_i32 s12, s11, 24
	s_mul_hi_u32 s13, s10, 24
	s_mul_i32 s14, s10, 24
	s_add_i32 s12, s13, s12
	v_mov_b32_e32 v2, s12
	s_waitcnt vmcnt(0)
	v_add_co_u32_e32 v8, vcc, s14, v4
	v_addc_co_u32_e32 v9, vcc, v5, v2, vcc
	s_and_saveexec_b64 s[12:13], s[4:5]
	s_cbranch_execz .LBB6_124
; %bb.123:                              ;   in Loop: Header=BB6_2 Depth=1
	v_mov_b32_e32 v52, s9
	v_mov_b32_e32 v51, s8
	global_store_dwordx4 v[8:9], v[51:54], off offset:8
.LBB6_124:                              ;   in Loop: Header=BB6_2 Depth=1
	s_or_b64 exec, exec, s[12:13]
	s_lshl_b64 s[8:9], s[10:11], 12
	v_mov_b32_e32 v2, s9
	v_add_co_u32_e32 v6, vcc, s8, v6
	v_addc_co_u32_e32 v7, vcc, v7, v2, vcc
	v_and_or_b32 v0, v0, s23, 32
	v_lshlrev_b32_e32 v10, 6, v55
	v_mov_b32_e32 v2, v50
	v_mov_b32_e32 v3, v50
	v_readfirstlane_b32 s8, v6
	v_readfirstlane_b32 s9, v7
	s_nop 4
	global_store_dwordx4 v10, v[0:3], s[8:9]
	s_nop 0
	v_mov_b32_e32 v0, s36
	v_mov_b32_e32 v1, s37
	v_mov_b32_e32 v2, s38
	v_mov_b32_e32 v3, s39
	global_store_dwordx4 v10, v[0:3], s[8:9] offset:16
	global_store_dwordx4 v10, v[0:3], s[8:9] offset:32
	global_store_dwordx4 v10, v[0:3], s[8:9] offset:48
	s_and_saveexec_b64 s[8:9], s[4:5]
	s_cbranch_execz .LBB6_132
; %bb.125:                              ;   in Loop: Header=BB6_2 Depth=1
	global_load_dwordx2 v[13:14], v50, s[28:29] offset:32 glc
	global_load_dwordx2 v[0:1], v50, s[28:29] offset:40
	v_mov_b32_e32 v11, s6
	v_mov_b32_e32 v12, s7
	s_waitcnt vmcnt(0)
	v_readfirstlane_b32 s10, v0
	v_readfirstlane_b32 s11, v1
	s_and_b64 s[10:11], s[10:11], s[6:7]
	s_mul_i32 s11, s11, 24
	s_mul_hi_u32 s12, s10, 24
	s_mul_i32 s10, s10, 24
	s_add_i32 s11, s12, s11
	v_mov_b32_e32 v0, s11
	v_add_co_u32_e32 v4, vcc, s10, v4
	v_addc_co_u32_e32 v5, vcc, v5, v0, vcc
	global_store_dwordx2 v[4:5], v[13:14], off
	s_waitcnt vmcnt(0)
	global_atomic_cmpswap_x2 v[2:3], v50, v[11:14], s[28:29] offset:32 glc
	s_waitcnt vmcnt(0)
	v_cmp_ne_u64_e32 vcc, v[2:3], v[13:14]
	s_and_saveexec_b64 s[10:11], vcc
	s_cbranch_execz .LBB6_128
; %bb.126:                              ;   in Loop: Header=BB6_2 Depth=1
	s_mov_b64 s[12:13], 0
.LBB6_127:                              ;   Parent Loop BB6_2 Depth=1
                                        ; =>  This Inner Loop Header: Depth=2
	s_sleep 1
	global_store_dwordx2 v[4:5], v[2:3], off
	v_mov_b32_e32 v0, s6
	v_mov_b32_e32 v1, s7
	s_waitcnt vmcnt(0)
	global_atomic_cmpswap_x2 v[0:1], v50, v[0:3], s[28:29] offset:32 glc
	s_waitcnt vmcnt(0)
	v_cmp_eq_u64_e32 vcc, v[0:1], v[2:3]
	v_mov_b32_e32 v3, v1
	s_or_b64 s[12:13], vcc, s[12:13]
	v_mov_b32_e32 v2, v0
	s_andn2_b64 exec, exec, s[12:13]
	s_cbranch_execnz .LBB6_127
.LBB6_128:                              ;   in Loop: Header=BB6_2 Depth=1
	s_or_b64 exec, exec, s[10:11]
	global_load_dwordx2 v[0:1], v50, s[28:29] offset:16
	s_mov_b64 s[12:13], exec
	v_mbcnt_lo_u32_b32 v2, s12, 0
	v_mbcnt_hi_u32_b32 v2, s13, v2
	v_cmp_eq_u32_e32 vcc, 0, v2
	s_and_saveexec_b64 s[10:11], vcc
	s_cbranch_execz .LBB6_130
; %bb.129:                              ;   in Loop: Header=BB6_2 Depth=1
	s_bcnt1_i32_b64 s12, s[12:13]
	v_mov_b32_e32 v49, s12
	s_waitcnt vmcnt(0)
	global_atomic_add_x2 v[0:1], v[49:50], off offset:8
.LBB6_130:                              ;   in Loop: Header=BB6_2 Depth=1
	s_or_b64 exec, exec, s[10:11]
	s_waitcnt vmcnt(0)
	global_load_dwordx2 v[2:3], v[0:1], off offset:16
	s_waitcnt vmcnt(0)
	v_cmp_eq_u64_e32 vcc, 0, v[2:3]
	s_cbranch_vccnz .LBB6_132
; %bb.131:                              ;   in Loop: Header=BB6_2 Depth=1
	global_load_dword v49, v[0:1], off offset:24
	s_waitcnt vmcnt(0)
	v_and_b32_e32 v0, 0xffffff, v49
	v_readfirstlane_b32 m0, v0
	global_store_dwordx2 v[2:3], v[49:50], off
	s_sendmsg sendmsg(MSG_INTERRUPT)
.LBB6_132:                              ;   in Loop: Header=BB6_2 Depth=1
	s_or_b64 exec, exec, s[8:9]
	v_add_co_u32_e32 v0, vcc, v6, v10
	v_addc_co_u32_e32 v1, vcc, 0, v7, vcc
	s_branch .LBB6_136
.LBB6_133:                              ;   in Loop: Header=BB6_136 Depth=2
	s_or_b64 exec, exec, s[8:9]
	v_readfirstlane_b32 s8, v2
	s_cmp_eq_u32 s8, 0
	s_cbranch_scc1 .LBB6_135
; %bb.134:                              ;   in Loop: Header=BB6_136 Depth=2
	s_sleep 1
	s_cbranch_execnz .LBB6_136
	s_branch .LBB6_138
.LBB6_135:                              ;   in Loop: Header=BB6_2 Depth=1
	s_branch .LBB6_138
.LBB6_136:                              ;   Parent Loop BB6_2 Depth=1
                                        ; =>  This Inner Loop Header: Depth=2
	v_mov_b32_e32 v2, 1
	s_and_saveexec_b64 s[8:9], s[4:5]
	s_cbranch_execz .LBB6_133
; %bb.137:                              ;   in Loop: Header=BB6_136 Depth=2
	global_load_dword v2, v[8:9], off offset:20 glc
	s_waitcnt vmcnt(0)
	buffer_wbinvl1_vol
	v_and_b32_e32 v2, 1, v2
	s_branch .LBB6_133
.LBB6_138:                              ;   in Loop: Header=BB6_2 Depth=1
	global_load_dwordx2 v[2:3], v[0:1], off
	s_and_saveexec_b64 s[8:9], s[4:5]
	s_cbranch_execz .LBB6_142
; %bb.139:                              ;   in Loop: Header=BB6_2 Depth=1
	global_load_dwordx2 v[0:1], v50, s[28:29] offset:40
	global_load_dwordx2 v[8:9], v50, s[28:29] offset:24 glc
	global_load_dwordx2 v[10:11], v50, s[28:29]
	v_mov_b32_e32 v5, s7
	s_waitcnt vmcnt(2)
	v_add_co_u32_e32 v6, vcc, 1, v0
	v_addc_co_u32_e32 v7, vcc, 0, v1, vcc
	v_add_co_u32_e32 v4, vcc, s6, v6
	v_addc_co_u32_e32 v5, vcc, v7, v5, vcc
	v_cmp_eq_u64_e32 vcc, 0, v[4:5]
	v_cndmask_b32_e32 v5, v5, v7, vcc
	v_cndmask_b32_e32 v4, v4, v6, vcc
	v_and_b32_e32 v1, v5, v1
	v_and_b32_e32 v0, v4, v0
	v_mul_lo_u32 v1, v1, 24
	v_mul_hi_u32 v7, v0, 24
	v_mul_lo_u32 v0, v0, 24
	s_waitcnt vmcnt(1)
	v_mov_b32_e32 v6, v8
	v_add_u32_e32 v1, v7, v1
	s_waitcnt vmcnt(0)
	v_add_co_u32_e32 v0, vcc, v10, v0
	v_addc_co_u32_e32 v1, vcc, v11, v1, vcc
	global_store_dwordx2 v[0:1], v[8:9], off
	v_mov_b32_e32 v7, v9
	s_waitcnt vmcnt(0)
	global_atomic_cmpswap_x2 v[6:7], v50, v[4:7], s[28:29] offset:24 glc
	s_waitcnt vmcnt(0)
	v_cmp_ne_u64_e32 vcc, v[6:7], v[8:9]
	s_and_b64 exec, exec, vcc
	s_cbranch_execz .LBB6_142
; %bb.140:                              ;   in Loop: Header=BB6_2 Depth=1
	s_mov_b64 s[4:5], 0
.LBB6_141:                              ;   Parent Loop BB6_2 Depth=1
                                        ; =>  This Inner Loop Header: Depth=2
	s_sleep 1
	global_store_dwordx2 v[0:1], v[6:7], off
	s_waitcnt vmcnt(0)
	global_atomic_cmpswap_x2 v[8:9], v50, v[4:7], s[28:29] offset:24 glc
	s_waitcnt vmcnt(0)
	v_cmp_eq_u64_e32 vcc, v[8:9], v[6:7]
	v_mov_b32_e32 v6, v8
	s_or_b64 s[4:5], vcc, s[4:5]
	v_mov_b32_e32 v7, v9
	s_andn2_b64 exec, exec, s[4:5]
	s_cbranch_execnz .LBB6_141
.LBB6_142:                              ;   in Loop: Header=BB6_2 Depth=1
	s_or_b64 exec, exec, s[8:9]
.LBB6_143:                              ;   in Loop: Header=BB6_2 Depth=1
	v_readfirstlane_b32 s4, v55
	s_waitcnt vmcnt(0)
	v_mov_b32_e32 v0, 0
	v_mov_b32_e32 v1, 0
	v_cmp_eq_u32_e64 s[4:5], s4, v55
	s_and_saveexec_b64 s[6:7], s[4:5]
	s_cbranch_execz .LBB6_149
; %bb.144:                              ;   in Loop: Header=BB6_2 Depth=1
	global_load_dwordx2 v[6:7], v50, s[28:29] offset:24 glc
	s_waitcnt vmcnt(0)
	buffer_wbinvl1_vol
	global_load_dwordx2 v[0:1], v50, s[28:29] offset:40
	global_load_dwordx2 v[4:5], v50, s[28:29]
	s_waitcnt vmcnt(1)
	v_and_b32_e32 v0, v0, v6
	v_and_b32_e32 v1, v1, v7
	v_mul_lo_u32 v1, v1, 24
	v_mul_hi_u32 v8, v0, 24
	v_mul_lo_u32 v0, v0, 24
	v_add_u32_e32 v1, v8, v1
	s_waitcnt vmcnt(0)
	v_add_co_u32_e32 v0, vcc, v4, v0
	v_addc_co_u32_e32 v1, vcc, v5, v1, vcc
	global_load_dwordx2 v[4:5], v[0:1], off glc
	s_waitcnt vmcnt(0)
	global_atomic_cmpswap_x2 v[0:1], v50, v[4:7], s[28:29] offset:24 glc
	s_waitcnt vmcnt(0)
	buffer_wbinvl1_vol
	v_cmp_ne_u64_e32 vcc, v[0:1], v[6:7]
	s_and_saveexec_b64 s[8:9], vcc
	s_cbranch_execz .LBB6_148
; %bb.145:                              ;   in Loop: Header=BB6_2 Depth=1
	s_mov_b64 s[10:11], 0
.LBB6_146:                              ;   Parent Loop BB6_2 Depth=1
                                        ; =>  This Inner Loop Header: Depth=2
	s_sleep 1
	global_load_dwordx2 v[4:5], v50, s[28:29] offset:40
	global_load_dwordx2 v[8:9], v50, s[28:29]
	v_mov_b32_e32 v7, v1
	v_mov_b32_e32 v6, v0
	s_waitcnt vmcnt(1)
	v_and_b32_e32 v0, v4, v6
	s_waitcnt vmcnt(0)
	v_mad_u64_u32 v[0:1], s[12:13], v0, 24, v[8:9]
	v_and_b32_e32 v4, v5, v7
	v_mad_u64_u32 v[4:5], s[12:13], v4, 24, v[1:2]
	v_mov_b32_e32 v1, v4
	global_load_dwordx2 v[4:5], v[0:1], off glc
	s_waitcnt vmcnt(0)
	global_atomic_cmpswap_x2 v[0:1], v50, v[4:7], s[28:29] offset:24 glc
	s_waitcnt vmcnt(0)
	buffer_wbinvl1_vol
	v_cmp_eq_u64_e32 vcc, v[0:1], v[6:7]
	s_or_b64 s[10:11], vcc, s[10:11]
	s_andn2_b64 exec, exec, s[10:11]
	s_cbranch_execnz .LBB6_146
; %bb.147:                              ;   in Loop: Header=BB6_2 Depth=1
	s_or_b64 exec, exec, s[10:11]
.LBB6_148:                              ;   in Loop: Header=BB6_2 Depth=1
	s_or_b64 exec, exec, s[8:9]
.LBB6_149:                              ;   in Loop: Header=BB6_2 Depth=1
	s_or_b64 exec, exec, s[6:7]
	global_load_dwordx2 v[4:5], v50, s[28:29] offset:40
	global_load_dwordx4 v[6:9], v50, s[28:29]
	v_readfirstlane_b32 s6, v0
	v_readfirstlane_b32 s7, v1
	s_mov_b64 s[8:9], exec
	s_waitcnt vmcnt(1)
	v_readfirstlane_b32 s10, v4
	v_readfirstlane_b32 s11, v5
	s_and_b64 s[10:11], s[6:7], s[10:11]
	s_mul_i32 s12, s11, 24
	s_mul_hi_u32 s13, s10, 24
	s_mul_i32 s14, s10, 24
	s_add_i32 s12, s13, s12
	v_mov_b32_e32 v0, s12
	s_waitcnt vmcnt(0)
	v_add_co_u32_e32 v10, vcc, s14, v6
	v_addc_co_u32_e32 v11, vcc, v7, v0, vcc
	s_and_saveexec_b64 s[12:13], s[4:5]
	s_cbranch_execz .LBB6_151
; %bb.150:                              ;   in Loop: Header=BB6_2 Depth=1
	v_mov_b32_e32 v52, s9
	v_mov_b32_e32 v51, s8
	global_store_dwordx4 v[10:11], v[51:54], off offset:8
.LBB6_151:                              ;   in Loop: Header=BB6_2 Depth=1
	s_or_b64 exec, exec, s[12:13]
	s_lshl_b64 s[8:9], s[10:11], 12
	v_mov_b32_e32 v0, s9
	v_add_co_u32_e32 v1, vcc, s8, v8
	v_addc_co_u32_e32 v0, vcc, v9, v0, vcc
	v_and_or_b32 v2, v2, s40, 34
	v_ashrrev_i32_e32 v5, 31, v24
	v_lshlrev_b32_e32 v8, 6, v55
	v_mov_b32_e32 v4, v24
	v_readfirstlane_b32 s8, v1
	v_readfirstlane_b32 s9, v0
	s_nop 4
	global_store_dwordx4 v8, v[2:5], s[8:9]
	v_mov_b32_e32 v0, s36
	v_mov_b32_e32 v1, s37
	;; [unrolled: 1-line block ×4, first 2 shown]
	global_store_dwordx4 v8, v[0:3], s[8:9] offset:16
	global_store_dwordx4 v8, v[0:3], s[8:9] offset:32
	;; [unrolled: 1-line block ×3, first 2 shown]
	s_and_saveexec_b64 s[8:9], s[4:5]
	s_cbranch_execz .LBB6_159
; %bb.152:                              ;   in Loop: Header=BB6_2 Depth=1
	global_load_dwordx2 v[14:15], v50, s[28:29] offset:32 glc
	global_load_dwordx2 v[0:1], v50, s[28:29] offset:40
	v_mov_b32_e32 v12, s6
	v_mov_b32_e32 v13, s7
	s_waitcnt vmcnt(0)
	v_readfirstlane_b32 s10, v0
	v_readfirstlane_b32 s11, v1
	s_and_b64 s[10:11], s[10:11], s[6:7]
	s_mul_i32 s11, s11, 24
	s_mul_hi_u32 s12, s10, 24
	s_mul_i32 s10, s10, 24
	s_add_i32 s11, s12, s11
	v_mov_b32_e32 v0, s11
	v_add_co_u32_e32 v4, vcc, s10, v6
	v_addc_co_u32_e32 v5, vcc, v7, v0, vcc
	global_store_dwordx2 v[4:5], v[14:15], off
	s_waitcnt vmcnt(0)
	global_atomic_cmpswap_x2 v[2:3], v50, v[12:15], s[28:29] offset:32 glc
	s_waitcnt vmcnt(0)
	v_cmp_ne_u64_e32 vcc, v[2:3], v[14:15]
	s_and_saveexec_b64 s[10:11], vcc
	s_cbranch_execz .LBB6_155
; %bb.153:                              ;   in Loop: Header=BB6_2 Depth=1
	s_mov_b64 s[12:13], 0
.LBB6_154:                              ;   Parent Loop BB6_2 Depth=1
                                        ; =>  This Inner Loop Header: Depth=2
	s_sleep 1
	global_store_dwordx2 v[4:5], v[2:3], off
	v_mov_b32_e32 v0, s6
	v_mov_b32_e32 v1, s7
	s_waitcnt vmcnt(0)
	global_atomic_cmpswap_x2 v[0:1], v50, v[0:3], s[28:29] offset:32 glc
	s_waitcnt vmcnt(0)
	v_cmp_eq_u64_e32 vcc, v[0:1], v[2:3]
	v_mov_b32_e32 v3, v1
	s_or_b64 s[12:13], vcc, s[12:13]
	v_mov_b32_e32 v2, v0
	s_andn2_b64 exec, exec, s[12:13]
	s_cbranch_execnz .LBB6_154
.LBB6_155:                              ;   in Loop: Header=BB6_2 Depth=1
	s_or_b64 exec, exec, s[10:11]
	global_load_dwordx2 v[0:1], v50, s[28:29] offset:16
	s_mov_b64 s[12:13], exec
	v_mbcnt_lo_u32_b32 v2, s12, 0
	v_mbcnt_hi_u32_b32 v2, s13, v2
	v_cmp_eq_u32_e32 vcc, 0, v2
	s_and_saveexec_b64 s[10:11], vcc
	s_cbranch_execz .LBB6_157
; %bb.156:                              ;   in Loop: Header=BB6_2 Depth=1
	s_bcnt1_i32_b64 s12, s[12:13]
	v_mov_b32_e32 v49, s12
	s_waitcnt vmcnt(0)
	global_atomic_add_x2 v[0:1], v[49:50], off offset:8
.LBB6_157:                              ;   in Loop: Header=BB6_2 Depth=1
	s_or_b64 exec, exec, s[10:11]
	s_waitcnt vmcnt(0)
	global_load_dwordx2 v[2:3], v[0:1], off offset:16
	s_waitcnt vmcnt(0)
	v_cmp_eq_u64_e32 vcc, 0, v[2:3]
	s_cbranch_vccnz .LBB6_159
; %bb.158:                              ;   in Loop: Header=BB6_2 Depth=1
	global_load_dword v49, v[0:1], off offset:24
	s_waitcnt vmcnt(0)
	v_and_b32_e32 v0, 0xffffff, v49
	v_readfirstlane_b32 m0, v0
	global_store_dwordx2 v[2:3], v[49:50], off
	s_sendmsg sendmsg(MSG_INTERRUPT)
.LBB6_159:                              ;   in Loop: Header=BB6_2 Depth=1
	s_or_b64 exec, exec, s[8:9]
	s_branch .LBB6_163
.LBB6_160:                              ;   in Loop: Header=BB6_163 Depth=2
	s_or_b64 exec, exec, s[8:9]
	v_readfirstlane_b32 s8, v0
	s_cmp_eq_u32 s8, 0
	s_cbranch_scc1 .LBB6_162
; %bb.161:                              ;   in Loop: Header=BB6_163 Depth=2
	s_sleep 1
	s_cbranch_execnz .LBB6_163
	s_branch .LBB6_165
.LBB6_162:                              ;   in Loop: Header=BB6_2 Depth=1
	s_branch .LBB6_165
.LBB6_163:                              ;   Parent Loop BB6_2 Depth=1
                                        ; =>  This Inner Loop Header: Depth=2
	v_mov_b32_e32 v0, 1
	s_and_saveexec_b64 s[8:9], s[4:5]
	s_cbranch_execz .LBB6_160
; %bb.164:                              ;   in Loop: Header=BB6_163 Depth=2
	global_load_dword v0, v[10:11], off offset:20 glc
	s_waitcnt vmcnt(0)
	buffer_wbinvl1_vol
	v_and_b32_e32 v0, 1, v0
	s_branch .LBB6_160
.LBB6_165:                              ;   in Loop: Header=BB6_2 Depth=1
	s_and_saveexec_b64 s[8:9], s[4:5]
	s_cbranch_execz .LBB6_1
; %bb.166:                              ;   in Loop: Header=BB6_2 Depth=1
	global_load_dwordx2 v[2:3], v50, s[28:29] offset:40
	global_load_dwordx2 v[6:7], v50, s[28:29] offset:24 glc
	global_load_dwordx2 v[4:5], v50, s[28:29]
	v_mov_b32_e32 v1, s7
	s_waitcnt vmcnt(2)
	v_add_co_u32_e32 v8, vcc, 1, v2
	v_addc_co_u32_e32 v9, vcc, 0, v3, vcc
	v_add_co_u32_e32 v0, vcc, s6, v8
	v_addc_co_u32_e32 v1, vcc, v9, v1, vcc
	v_cmp_eq_u64_e32 vcc, 0, v[0:1]
	v_cndmask_b32_e32 v1, v1, v9, vcc
	v_cndmask_b32_e32 v0, v0, v8, vcc
	v_and_b32_e32 v3, v1, v3
	v_and_b32_e32 v2, v0, v2
	v_mul_lo_u32 v3, v3, 24
	v_mul_hi_u32 v8, v2, 24
	v_mul_lo_u32 v9, v2, 24
	s_waitcnt vmcnt(1)
	v_mov_b32_e32 v2, v6
	v_add_u32_e32 v3, v8, v3
	s_waitcnt vmcnt(0)
	v_add_co_u32_e32 v4, vcc, v4, v9
	v_addc_co_u32_e32 v5, vcc, v5, v3, vcc
	global_store_dwordx2 v[4:5], v[6:7], off
	v_mov_b32_e32 v3, v7
	s_waitcnt vmcnt(0)
	global_atomic_cmpswap_x2 v[2:3], v50, v[0:3], s[28:29] offset:24 glc
	s_waitcnt vmcnt(0)
	v_cmp_ne_u64_e32 vcc, v[2:3], v[6:7]
	s_and_b64 exec, exec, vcc
	s_cbranch_execz .LBB6_1
; %bb.167:                              ;   in Loop: Header=BB6_2 Depth=1
	s_mov_b64 s[4:5], 0
.LBB6_168:                              ;   Parent Loop BB6_2 Depth=1
                                        ; =>  This Inner Loop Header: Depth=2
	s_sleep 1
	global_store_dwordx2 v[4:5], v[2:3], off
	s_waitcnt vmcnt(0)
	global_atomic_cmpswap_x2 v[6:7], v50, v[0:3], s[28:29] offset:24 glc
	s_waitcnt vmcnt(0)
	v_cmp_eq_u64_e32 vcc, v[6:7], v[2:3]
	v_mov_b32_e32 v2, v6
	s_or_b64 s[4:5], vcc, s[4:5]
	v_mov_b32_e32 v3, v7
	s_andn2_b64 exec, exec, s[4:5]
	s_cbranch_execnz .LBB6_168
	s_branch .LBB6_1
.LBB6_169:
	s_getpc_b64 s[34:35]
	s_add_u32 s34, s34, .str.8@rel32@lo+4
	s_addc_u32 s35, s35, .str.8@rel32@hi+12
	s_mov_b64 s[8:9], s[24:25]
	v_mov_b32_e32 v0, s34
	v_mov_b32_e32 v1, s35
	s_getpc_b64 s[36:37]
	s_add_u32 s36, s36, _ZNK8migraphx13basic_printerIZNS_4coutEvEUlT_E_ElsEPKc@rel32@lo+4
	s_addc_u32 s37, s37, _ZNK8migraphx13basic_printerIZNS_4coutEvEUlT_E_ElsEPKc@rel32@hi+12
	s_swappc_b64 s[30:31], s[36:37]
	s_getpc_b64 s[4:5]
	s_add_u32 s4, s4, .str.10@rel32@lo+4
	s_addc_u32 s5, s5, .str.10@rel32@hi+12
	s_mov_b64 s[8:9], s[24:25]
	v_mov_b32_e32 v0, s4
	v_mov_b32_e32 v1, s5
	s_swappc_b64 s[30:31], s[36:37]
	s_mov_b64 s[8:9], s[24:25]
	v_mov_b32_e32 v0, s34
	v_mov_b32_e32 v1, s35
	s_swappc_b64 s[30:31], s[36:37]
	flat_load_dwordx2 v[52:53], v[36:37] offset:8
	s_mov_b32 s35, 0
	v_mov_b32_e32 v38, 0
	s_mov_b32 s36, s35
	s_mov_b32 s37, s35
	;; [unrolled: 1-line block ×4, first 2 shown]
	s_movk_i32 s23, 0xff1f
	s_movk_i32 s40, 0xff1d
	v_mov_b32_e32 v50, 2
	v_mov_b32_e32 v51, 1
	;; [unrolled: 1-line block ×3, first 2 shown]
	s_mov_b32 s34, s35
	s_branch .LBB6_171
.LBB6_170:                              ;   in Loop: Header=BB6_171 Depth=1
	s_or_b64 exec, exec, s[8:9]
	s_add_i32 s34, s34, 1
	s_cmp_lg_u32 s34, 3
	s_cbranch_scc0 .LBB6_338
.LBB6_171:                              ; =>This Loop Header: Depth=1
                                        ;     Child Loop BB6_176 Depth 2
                                        ;     Child Loop BB6_184 Depth 2
	;; [unrolled: 1-line block ×9, first 2 shown]
                                        ;       Child Loop BB6_205 Depth 3
                                        ;       Child Loop BB6_212 Depth 3
	;; [unrolled: 1-line block ×11, first 2 shown]
                                        ;     Child Loop BB6_315 Depth 2
                                        ;     Child Loop BB6_323 Depth 2
	;; [unrolled: 1-line block ×4, first 2 shown]
	s_cmp_eq_u32 s34, 0
	s_cbranch_scc1 .LBB6_173
; %bb.172:                              ;   in Loop: Header=BB6_171 Depth=1
	s_getpc_b64 s[4:5]
	s_add_u32 s4, s4, .str.11@rel32@lo+4
	s_addc_u32 s5, s5, .str.11@rel32@hi+12
	s_mov_b64 s[8:9], s[24:25]
	v_mov_b32_e32 v0, s4
	v_mov_b32_e32 v1, s5
	s_getpc_b64 s[6:7]
	s_add_u32 s6, s6, _ZNK8migraphx13basic_printerIZNS_4coutEvEUlT_E_ElsEPKc@rel32@lo+4
	s_addc_u32 s7, s7, _ZNK8migraphx13basic_printerIZNS_4coutEvEUlT_E_ElsEPKc@rel32@hi+12
	s_swappc_b64 s[30:31], s[6:7]
.LBB6_173:                              ;   in Loop: Header=BB6_171 Depth=1
	s_lshl_b64 s[4:5], s[34:35], 2
	v_mov_b32_e32 v1, s5
	s_waitcnt vmcnt(0) lgkmcnt(0)
	v_add_co_u32_e32 v0, vcc, s4, v52
	v_addc_co_u32_e32 v1, vcc, v53, v1, vcc
	flat_load_dword v24, v[0:1]
	v_readfirstlane_b32 s4, v55
	v_mov_b32_e32 v4, 0
	v_mov_b32_e32 v5, 0
	v_cmp_eq_u32_e64 s[4:5], s4, v55
	s_and_saveexec_b64 s[6:7], s[4:5]
	s_cbranch_execz .LBB6_179
; %bb.174:                              ;   in Loop: Header=BB6_171 Depth=1
	global_load_dwordx2 v[2:3], v38, s[28:29] offset:24 glc
	s_waitcnt vmcnt(0)
	buffer_wbinvl1_vol
	global_load_dwordx2 v[0:1], v38, s[28:29] offset:40
	global_load_dwordx2 v[4:5], v38, s[28:29]
	s_waitcnt vmcnt(0)
	v_and_b32_e32 v0, v0, v2
	v_and_b32_e32 v1, v1, v3
	v_mul_lo_u32 v1, v1, 24
	v_mul_hi_u32 v6, v0, 24
	v_mul_lo_u32 v0, v0, 24
	v_add_u32_e32 v1, v6, v1
	v_add_co_u32_e32 v0, vcc, v4, v0
	v_addc_co_u32_e32 v1, vcc, v5, v1, vcc
	global_load_dwordx2 v[0:1], v[0:1], off glc
	s_waitcnt vmcnt(0)
	global_atomic_cmpswap_x2 v[4:5], v38, v[0:3], s[28:29] offset:24 glc
	s_waitcnt vmcnt(0)
	buffer_wbinvl1_vol
	v_cmp_ne_u64_e32 vcc, v[4:5], v[2:3]
	s_and_saveexec_b64 s[8:9], vcc
	s_cbranch_execz .LBB6_178
; %bb.175:                              ;   in Loop: Header=BB6_171 Depth=1
	s_mov_b64 s[10:11], 0
.LBB6_176:                              ;   Parent Loop BB6_171 Depth=1
                                        ; =>  This Inner Loop Header: Depth=2
	s_sleep 1
	global_load_dwordx2 v[0:1], v38, s[28:29] offset:40
	global_load_dwordx2 v[6:7], v38, s[28:29]
	v_mov_b32_e32 v2, v4
	v_mov_b32_e32 v3, v5
	s_waitcnt vmcnt(0)
	v_and_b32_e32 v0, v0, v2
	v_mad_u64_u32 v[4:5], s[12:13], v0, 24, v[6:7]
	v_and_b32_e32 v1, v1, v3
	v_mov_b32_e32 v0, v5
	v_mad_u64_u32 v[0:1], s[12:13], v1, 24, v[0:1]
	v_mov_b32_e32 v5, v0
	global_load_dwordx2 v[0:1], v[4:5], off glc
	s_waitcnt vmcnt(0)
	global_atomic_cmpswap_x2 v[4:5], v38, v[0:3], s[28:29] offset:24 glc
	s_waitcnt vmcnt(0)
	buffer_wbinvl1_vol
	v_cmp_eq_u64_e32 vcc, v[4:5], v[2:3]
	s_or_b64 s[10:11], vcc, s[10:11]
	s_andn2_b64 exec, exec, s[10:11]
	s_cbranch_execnz .LBB6_176
; %bb.177:                              ;   in Loop: Header=BB6_171 Depth=1
	s_or_b64 exec, exec, s[10:11]
.LBB6_178:                              ;   in Loop: Header=BB6_171 Depth=1
	s_or_b64 exec, exec, s[8:9]
.LBB6_179:                              ;   in Loop: Header=BB6_171 Depth=1
	s_or_b64 exec, exec, s[6:7]
	global_load_dwordx2 v[6:7], v38, s[28:29] offset:40
	global_load_dwordx4 v[0:3], v38, s[28:29]
	v_readfirstlane_b32 s6, v4
	v_readfirstlane_b32 s7, v5
	s_mov_b64 s[8:9], exec
	s_waitcnt vmcnt(0)
	v_readfirstlane_b32 s10, v6
	v_readfirstlane_b32 s11, v7
	s_and_b64 s[10:11], s[6:7], s[10:11]
	s_mul_i32 s12, s11, 24
	s_mul_hi_u32 s13, s10, 24
	s_mul_i32 s14, s10, 24
	s_add_i32 s12, s13, s12
	v_mov_b32_e32 v5, s12
	v_add_co_u32_e32 v4, vcc, s14, v0
	v_addc_co_u32_e32 v5, vcc, v1, v5, vcc
	s_and_saveexec_b64 s[12:13], s[4:5]
	s_cbranch_execz .LBB6_181
; %bb.180:                              ;   in Loop: Header=BB6_171 Depth=1
	v_mov_b32_e32 v49, s9
	v_mov_b32_e32 v48, s8
	global_store_dwordx4 v[4:5], v[48:51], off offset:8
.LBB6_181:                              ;   in Loop: Header=BB6_171 Depth=1
	s_or_b64 exec, exec, s[12:13]
	s_lshl_b64 s[8:9], s[10:11], 12
	v_mov_b32_e32 v6, s9
	v_add_co_u32_e32 v8, vcc, s8, v2
	v_addc_co_u32_e32 v9, vcc, v3, v6, vcc
	v_mov_b32_e32 v10, s36
	v_mov_b32_e32 v37, v38
	;; [unrolled: 1-line block ×3, first 2 shown]
	v_readfirstlane_b32 s8, v8
	v_readfirstlane_b32 s9, v9
	v_mov_b32_e32 v11, s37
	v_mov_b32_e32 v12, s38
	;; [unrolled: 1-line block ×3, first 2 shown]
	s_nop 1
	global_store_dwordx4 v40, v[36:39], s[8:9]
	global_store_dwordx4 v40, v[10:13], s[8:9] offset:16
	global_store_dwordx4 v40, v[10:13], s[8:9] offset:32
	;; [unrolled: 1-line block ×3, first 2 shown]
	s_and_saveexec_b64 s[8:9], s[4:5]
	s_cbranch_execz .LBB6_189
; %bb.182:                              ;   in Loop: Header=BB6_171 Depth=1
	global_load_dwordx2 v[12:13], v38, s[28:29] offset:32 glc
	global_load_dwordx2 v[2:3], v38, s[28:29] offset:40
	v_mov_b32_e32 v10, s6
	v_mov_b32_e32 v11, s7
	s_waitcnt vmcnt(0)
	v_readfirstlane_b32 s10, v2
	v_readfirstlane_b32 s11, v3
	s_and_b64 s[10:11], s[10:11], s[6:7]
	s_mul_i32 s11, s11, 24
	s_mul_hi_u32 s12, s10, 24
	s_mul_i32 s10, s10, 24
	s_add_i32 s11, s12, s11
	v_mov_b32_e32 v2, s11
	v_add_co_u32_e32 v6, vcc, s10, v0
	v_addc_co_u32_e32 v7, vcc, v1, v2, vcc
	global_store_dwordx2 v[6:7], v[12:13], off
	s_waitcnt vmcnt(0)
	global_atomic_cmpswap_x2 v[2:3], v38, v[10:13], s[28:29] offset:32 glc
	s_waitcnt vmcnt(0)
	v_cmp_ne_u64_e32 vcc, v[2:3], v[12:13]
	s_and_saveexec_b64 s[10:11], vcc
	s_cbranch_execz .LBB6_185
; %bb.183:                              ;   in Loop: Header=BB6_171 Depth=1
	s_mov_b64 s[12:13], 0
.LBB6_184:                              ;   Parent Loop BB6_171 Depth=1
                                        ; =>  This Inner Loop Header: Depth=2
	s_sleep 1
	global_store_dwordx2 v[6:7], v[2:3], off
	v_mov_b32_e32 v0, s6
	v_mov_b32_e32 v1, s7
	s_waitcnt vmcnt(0)
	global_atomic_cmpswap_x2 v[0:1], v38, v[0:3], s[28:29] offset:32 glc
	s_waitcnt vmcnt(0)
	v_cmp_eq_u64_e32 vcc, v[0:1], v[2:3]
	v_mov_b32_e32 v3, v1
	s_or_b64 s[12:13], vcc, s[12:13]
	v_mov_b32_e32 v2, v0
	s_andn2_b64 exec, exec, s[12:13]
	s_cbranch_execnz .LBB6_184
.LBB6_185:                              ;   in Loop: Header=BB6_171 Depth=1
	s_or_b64 exec, exec, s[10:11]
	global_load_dwordx2 v[0:1], v38, s[28:29] offset:16
	s_mov_b64 s[12:13], exec
	v_mbcnt_lo_u32_b32 v2, s12, 0
	v_mbcnt_hi_u32_b32 v2, s13, v2
	v_cmp_eq_u32_e32 vcc, 0, v2
	s_and_saveexec_b64 s[10:11], vcc
	s_cbranch_execz .LBB6_187
; %bb.186:                              ;   in Loop: Header=BB6_171 Depth=1
	s_bcnt1_i32_b64 s12, s[12:13]
	v_mov_b32_e32 v37, s12
	s_waitcnt vmcnt(0)
	global_atomic_add_x2 v[0:1], v[37:38], off offset:8
.LBB6_187:                              ;   in Loop: Header=BB6_171 Depth=1
	s_or_b64 exec, exec, s[10:11]
	s_waitcnt vmcnt(0)
	global_load_dwordx2 v[2:3], v[0:1], off offset:16
	s_waitcnt vmcnt(0)
	v_cmp_eq_u64_e32 vcc, 0, v[2:3]
	s_cbranch_vccnz .LBB6_189
; %bb.188:                              ;   in Loop: Header=BB6_171 Depth=1
	global_load_dword v37, v[0:1], off offset:24
	s_waitcnt vmcnt(0)
	v_and_b32_e32 v0, 0xffffff, v37
	v_readfirstlane_b32 m0, v0
	global_store_dwordx2 v[2:3], v[37:38], off
	s_sendmsg sendmsg(MSG_INTERRUPT)
.LBB6_189:                              ;   in Loop: Header=BB6_171 Depth=1
	s_or_b64 exec, exec, s[8:9]
	v_add_co_u32_e32 v0, vcc, v8, v40
	v_addc_co_u32_e32 v1, vcc, 0, v9, vcc
	s_branch .LBB6_193
.LBB6_190:                              ;   in Loop: Header=BB6_193 Depth=2
	s_or_b64 exec, exec, s[8:9]
	v_readfirstlane_b32 s8, v2
	s_cmp_eq_u32 s8, 0
	s_cbranch_scc1 .LBB6_192
; %bb.191:                              ;   in Loop: Header=BB6_193 Depth=2
	s_sleep 1
	s_cbranch_execnz .LBB6_193
	s_branch .LBB6_195
.LBB6_192:                              ;   in Loop: Header=BB6_171 Depth=1
	s_branch .LBB6_195
.LBB6_193:                              ;   Parent Loop BB6_171 Depth=1
                                        ; =>  This Inner Loop Header: Depth=2
	v_mov_b32_e32 v2, 1
	s_and_saveexec_b64 s[8:9], s[4:5]
	s_cbranch_execz .LBB6_190
; %bb.194:                              ;   in Loop: Header=BB6_193 Depth=2
	global_load_dword v2, v[4:5], off offset:20 glc
	s_waitcnt vmcnt(0)
	buffer_wbinvl1_vol
	v_and_b32_e32 v2, 1, v2
	s_branch .LBB6_190
.LBB6_195:                              ;   in Loop: Header=BB6_171 Depth=1
	global_load_dwordx2 v[0:1], v[0:1], off
	s_and_saveexec_b64 s[8:9], s[4:5]
	s_cbranch_execz .LBB6_199
; %bb.196:                              ;   in Loop: Header=BB6_171 Depth=1
	global_load_dwordx2 v[4:5], v38, s[28:29] offset:40
	global_load_dwordx2 v[8:9], v38, s[28:29] offset:24 glc
	global_load_dwordx2 v[6:7], v38, s[28:29]
	v_mov_b32_e32 v3, s7
	s_waitcnt vmcnt(0)
	v_add_co_u32_e32 v10, vcc, 1, v4
	v_addc_co_u32_e32 v11, vcc, 0, v5, vcc
	v_add_co_u32_e32 v2, vcc, s6, v10
	v_addc_co_u32_e32 v3, vcc, v11, v3, vcc
	v_cmp_eq_u64_e32 vcc, 0, v[2:3]
	v_cndmask_b32_e32 v3, v3, v11, vcc
	v_cndmask_b32_e32 v2, v2, v10, vcc
	v_and_b32_e32 v5, v3, v5
	v_and_b32_e32 v4, v2, v4
	v_mul_lo_u32 v5, v5, 24
	v_mul_hi_u32 v10, v4, 24
	v_mul_lo_u32 v11, v4, 24
	v_mov_b32_e32 v4, v8
	v_add_u32_e32 v5, v10, v5
	v_add_co_u32_e32 v6, vcc, v6, v11
	v_addc_co_u32_e32 v7, vcc, v7, v5, vcc
	global_store_dwordx2 v[6:7], v[8:9], off
	v_mov_b32_e32 v5, v9
	s_waitcnt vmcnt(0)
	global_atomic_cmpswap_x2 v[4:5], v38, v[2:5], s[28:29] offset:24 glc
	s_waitcnt vmcnt(0)
	v_cmp_ne_u64_e32 vcc, v[4:5], v[8:9]
	s_and_b64 exec, exec, vcc
	s_cbranch_execz .LBB6_199
; %bb.197:                              ;   in Loop: Header=BB6_171 Depth=1
	s_mov_b64 s[4:5], 0
.LBB6_198:                              ;   Parent Loop BB6_171 Depth=1
                                        ; =>  This Inner Loop Header: Depth=2
	s_sleep 1
	global_store_dwordx2 v[6:7], v[4:5], off
	s_waitcnt vmcnt(0)
	global_atomic_cmpswap_x2 v[8:9], v38, v[2:5], s[28:29] offset:24 glc
	s_waitcnt vmcnt(0)
	v_cmp_eq_u64_e32 vcc, v[8:9], v[4:5]
	v_mov_b32_e32 v4, v8
	s_or_b64 s[4:5], vcc, s[4:5]
	v_mov_b32_e32 v5, v9
	s_andn2_b64 exec, exec, s[4:5]
	s_cbranch_execnz .LBB6_198
.LBB6_199:                              ;   in Loop: Header=BB6_171 Depth=1
	s_or_b64 exec, exec, s[8:9]
	s_and_b64 vcc, exec, s[26:27]
	s_cbranch_vccz .LBB6_284
; %bb.200:                              ;   in Loop: Header=BB6_171 Depth=1
	s_waitcnt vmcnt(0)
	v_and_b32_e32 v25, 2, v0
	v_and_b32_e32 v2, -3, v0
	v_mov_b32_e32 v3, v1
	s_mov_b64 s[8:9], 4
	s_getpc_b64 s[6:7]
	s_add_u32 s6, s6, .str.7@rel32@lo+4
	s_addc_u32 s7, s7, .str.7@rel32@hi+12
	s_branch .LBB6_202
.LBB6_201:                              ;   in Loop: Header=BB6_202 Depth=2
	s_or_b64 exec, exec, s[14:15]
	s_sub_u32 s8, s8, s10
	s_subb_u32 s9, s9, s11
	s_add_u32 s6, s6, s10
	s_addc_u32 s7, s7, s11
	s_cmp_lg_u64 s[8:9], 0
	s_cbranch_scc0 .LBB6_283
.LBB6_202:                              ;   Parent Loop BB6_171 Depth=1
                                        ; =>  This Loop Header: Depth=2
                                        ;       Child Loop BB6_205 Depth 3
                                        ;       Child Loop BB6_212 Depth 3
	;; [unrolled: 1-line block ×11, first 2 shown]
	v_cmp_lt_u64_e64 s[4:5], s[8:9], 56
	v_cmp_gt_u64_e64 s[12:13], s[8:9], 7
	s_and_b64 s[4:5], s[4:5], exec
	s_cselect_b32 s11, s9, 0
	s_cselect_b32 s10, s8, 56
	s_and_b64 vcc, exec, s[12:13]
	s_cbranch_vccnz .LBB6_207
; %bb.203:                              ;   in Loop: Header=BB6_202 Depth=2
	s_waitcnt vmcnt(0)
	v_mov_b32_e32 v4, 0
	s_cmp_eq_u64 s[8:9], 0
	v_mov_b32_e32 v5, 0
	s_mov_b64 s[4:5], 0
	s_cbranch_scc1 .LBB6_206
; %bb.204:                              ;   in Loop: Header=BB6_202 Depth=2
	v_mov_b32_e32 v4, 0
	s_lshl_b64 s[12:13], s[10:11], 3
	s_mov_b64 s[14:15], 0
	v_mov_b32_e32 v5, 0
	s_mov_b64 s[16:17], s[6:7]
.LBB6_205:                              ;   Parent Loop BB6_171 Depth=1
                                        ;     Parent Loop BB6_202 Depth=2
                                        ; =>    This Inner Loop Header: Depth=3
	global_load_ubyte v6, v38, s[16:17]
	s_waitcnt vmcnt(0)
	v_and_b32_e32 v37, 0xffff, v6
	v_lshlrev_b64 v[6:7], s14, v[37:38]
	s_add_u32 s14, s14, 8
	s_addc_u32 s15, s15, 0
	s_add_u32 s16, s16, 1
	s_addc_u32 s17, s17, 0
	v_or_b32_e32 v4, v6, v4
	s_cmp_lg_u32 s12, s14
	v_or_b32_e32 v5, v7, v5
	s_cbranch_scc1 .LBB6_205
.LBB6_206:                              ;   in Loop: Header=BB6_202 Depth=2
	s_mov_b32 s16, 0
	s_andn2_b64 vcc, exec, s[4:5]
	s_mov_b64 s[4:5], s[6:7]
	s_cbranch_vccz .LBB6_208
	s_branch .LBB6_209
.LBB6_207:                              ;   in Loop: Header=BB6_202 Depth=2
                                        ; implicit-def: $vgpr4_vgpr5
                                        ; implicit-def: $sgpr16
	s_mov_b64 s[4:5], s[6:7]
.LBB6_208:                              ;   in Loop: Header=BB6_202 Depth=2
	global_load_dwordx2 v[4:5], v38, s[6:7]
	s_add_i32 s16, s10, -8
	s_add_u32 s4, s6, 8
	s_addc_u32 s5, s7, 0
.LBB6_209:                              ;   in Loop: Header=BB6_202 Depth=2
	s_cmp_gt_u32 s16, 7
	s_cbranch_scc1 .LBB6_213
; %bb.210:                              ;   in Loop: Header=BB6_202 Depth=2
	s_cmp_eq_u32 s16, 0
	s_cbranch_scc1 .LBB6_214
; %bb.211:                              ;   in Loop: Header=BB6_202 Depth=2
	v_mov_b32_e32 v6, 0
	s_mov_b64 s[12:13], 0
	v_mov_b32_e32 v7, 0
	s_mov_b64 s[14:15], 0
.LBB6_212:                              ;   Parent Loop BB6_171 Depth=1
                                        ;     Parent Loop BB6_202 Depth=2
                                        ; =>    This Inner Loop Header: Depth=3
	s_add_u32 s18, s4, s14
	s_addc_u32 s19, s5, s15
	global_load_ubyte v8, v38, s[18:19]
	s_add_u32 s14, s14, 1
	s_addc_u32 s15, s15, 0
	s_waitcnt vmcnt(0)
	v_and_b32_e32 v37, 0xffff, v8
	v_lshlrev_b64 v[8:9], s12, v[37:38]
	s_add_u32 s12, s12, 8
	s_addc_u32 s13, s13, 0
	v_or_b32_e32 v6, v8, v6
	s_cmp_lg_u32 s16, s14
	v_or_b32_e32 v7, v9, v7
	s_cbranch_scc1 .LBB6_212
	s_branch .LBB6_215
.LBB6_213:                              ;   in Loop: Header=BB6_202 Depth=2
                                        ; implicit-def: $vgpr6_vgpr7
                                        ; implicit-def: $sgpr17
	s_branch .LBB6_216
.LBB6_214:                              ;   in Loop: Header=BB6_202 Depth=2
	v_mov_b32_e32 v6, 0
	v_mov_b32_e32 v7, 0
.LBB6_215:                              ;   in Loop: Header=BB6_202 Depth=2
	s_mov_b32 s17, 0
	s_cbranch_execnz .LBB6_217
.LBB6_216:                              ;   in Loop: Header=BB6_202 Depth=2
	global_load_dwordx2 v[6:7], v38, s[4:5]
	s_add_i32 s17, s16, -8
	s_add_u32 s4, s4, 8
	s_addc_u32 s5, s5, 0
.LBB6_217:                              ;   in Loop: Header=BB6_202 Depth=2
	s_cmp_gt_u32 s17, 7
	s_cbranch_scc1 .LBB6_221
; %bb.218:                              ;   in Loop: Header=BB6_202 Depth=2
	s_cmp_eq_u32 s17, 0
	s_cbranch_scc1 .LBB6_222
; %bb.219:                              ;   in Loop: Header=BB6_202 Depth=2
	v_mov_b32_e32 v8, 0
	s_mov_b64 s[12:13], 0
	v_mov_b32_e32 v9, 0
	s_mov_b64 s[14:15], 0
.LBB6_220:                              ;   Parent Loop BB6_171 Depth=1
                                        ;     Parent Loop BB6_202 Depth=2
                                        ; =>    This Inner Loop Header: Depth=3
	s_add_u32 s18, s4, s14
	s_addc_u32 s19, s5, s15
	global_load_ubyte v10, v38, s[18:19]
	s_add_u32 s14, s14, 1
	s_addc_u32 s15, s15, 0
	s_waitcnt vmcnt(0)
	v_and_b32_e32 v37, 0xffff, v10
	v_lshlrev_b64 v[10:11], s12, v[37:38]
	s_add_u32 s12, s12, 8
	s_addc_u32 s13, s13, 0
	v_or_b32_e32 v8, v10, v8
	s_cmp_lg_u32 s17, s14
	v_or_b32_e32 v9, v11, v9
	s_cbranch_scc1 .LBB6_220
	s_branch .LBB6_223
.LBB6_221:                              ;   in Loop: Header=BB6_202 Depth=2
                                        ; implicit-def: $sgpr16
	s_branch .LBB6_224
.LBB6_222:                              ;   in Loop: Header=BB6_202 Depth=2
	v_mov_b32_e32 v8, 0
	v_mov_b32_e32 v9, 0
.LBB6_223:                              ;   in Loop: Header=BB6_202 Depth=2
	s_mov_b32 s16, 0
	s_cbranch_execnz .LBB6_225
.LBB6_224:                              ;   in Loop: Header=BB6_202 Depth=2
	global_load_dwordx2 v[8:9], v38, s[4:5]
	s_add_i32 s16, s17, -8
	s_add_u32 s4, s4, 8
	s_addc_u32 s5, s5, 0
.LBB6_225:                              ;   in Loop: Header=BB6_202 Depth=2
	s_cmp_gt_u32 s16, 7
	s_cbranch_scc1 .LBB6_229
; %bb.226:                              ;   in Loop: Header=BB6_202 Depth=2
	s_cmp_eq_u32 s16, 0
	s_cbranch_scc1 .LBB6_230
; %bb.227:                              ;   in Loop: Header=BB6_202 Depth=2
	v_mov_b32_e32 v10, 0
	s_mov_b64 s[12:13], 0
	v_mov_b32_e32 v11, 0
	s_mov_b64 s[14:15], 0
.LBB6_228:                              ;   Parent Loop BB6_171 Depth=1
                                        ;     Parent Loop BB6_202 Depth=2
                                        ; =>    This Inner Loop Header: Depth=3
	s_add_u32 s18, s4, s14
	s_addc_u32 s19, s5, s15
	global_load_ubyte v12, v38, s[18:19]
	s_add_u32 s14, s14, 1
	s_addc_u32 s15, s15, 0
	s_waitcnt vmcnt(0)
	v_and_b32_e32 v37, 0xffff, v12
	v_lshlrev_b64 v[12:13], s12, v[37:38]
	s_add_u32 s12, s12, 8
	s_addc_u32 s13, s13, 0
	v_or_b32_e32 v10, v12, v10
	s_cmp_lg_u32 s16, s14
	v_or_b32_e32 v11, v13, v11
	s_cbranch_scc1 .LBB6_228
	s_branch .LBB6_231
.LBB6_229:                              ;   in Loop: Header=BB6_202 Depth=2
                                        ; implicit-def: $vgpr10_vgpr11
                                        ; implicit-def: $sgpr17
	s_branch .LBB6_232
.LBB6_230:                              ;   in Loop: Header=BB6_202 Depth=2
	v_mov_b32_e32 v10, 0
	v_mov_b32_e32 v11, 0
.LBB6_231:                              ;   in Loop: Header=BB6_202 Depth=2
	s_mov_b32 s17, 0
	s_cbranch_execnz .LBB6_233
.LBB6_232:                              ;   in Loop: Header=BB6_202 Depth=2
	global_load_dwordx2 v[10:11], v38, s[4:5]
	s_add_i32 s17, s16, -8
	s_add_u32 s4, s4, 8
	s_addc_u32 s5, s5, 0
.LBB6_233:                              ;   in Loop: Header=BB6_202 Depth=2
	s_cmp_gt_u32 s17, 7
	s_cbranch_scc1 .LBB6_237
; %bb.234:                              ;   in Loop: Header=BB6_202 Depth=2
	s_cmp_eq_u32 s17, 0
	s_cbranch_scc1 .LBB6_238
; %bb.235:                              ;   in Loop: Header=BB6_202 Depth=2
	v_mov_b32_e32 v12, 0
	s_mov_b64 s[12:13], 0
	v_mov_b32_e32 v13, 0
	s_mov_b64 s[14:15], 0
.LBB6_236:                              ;   Parent Loop BB6_171 Depth=1
                                        ;     Parent Loop BB6_202 Depth=2
                                        ; =>    This Inner Loop Header: Depth=3
	s_add_u32 s18, s4, s14
	s_addc_u32 s19, s5, s15
	global_load_ubyte v14, v38, s[18:19]
	s_add_u32 s14, s14, 1
	s_addc_u32 s15, s15, 0
	s_waitcnt vmcnt(0)
	v_and_b32_e32 v37, 0xffff, v14
	v_lshlrev_b64 v[14:15], s12, v[37:38]
	s_add_u32 s12, s12, 8
	s_addc_u32 s13, s13, 0
	v_or_b32_e32 v12, v14, v12
	s_cmp_lg_u32 s17, s14
	v_or_b32_e32 v13, v15, v13
	s_cbranch_scc1 .LBB6_236
	s_branch .LBB6_239
.LBB6_237:                              ;   in Loop: Header=BB6_202 Depth=2
                                        ; implicit-def: $sgpr16
	s_branch .LBB6_240
.LBB6_238:                              ;   in Loop: Header=BB6_202 Depth=2
	v_mov_b32_e32 v12, 0
	v_mov_b32_e32 v13, 0
.LBB6_239:                              ;   in Loop: Header=BB6_202 Depth=2
	s_mov_b32 s16, 0
	s_cbranch_execnz .LBB6_241
.LBB6_240:                              ;   in Loop: Header=BB6_202 Depth=2
	global_load_dwordx2 v[12:13], v38, s[4:5]
	s_add_i32 s16, s17, -8
	s_add_u32 s4, s4, 8
	s_addc_u32 s5, s5, 0
.LBB6_241:                              ;   in Loop: Header=BB6_202 Depth=2
	s_cmp_gt_u32 s16, 7
	s_cbranch_scc1 .LBB6_245
; %bb.242:                              ;   in Loop: Header=BB6_202 Depth=2
	s_cmp_eq_u32 s16, 0
	s_cbranch_scc1 .LBB6_246
; %bb.243:                              ;   in Loop: Header=BB6_202 Depth=2
	v_mov_b32_e32 v14, 0
	s_mov_b64 s[12:13], 0
	v_mov_b32_e32 v15, 0
	s_mov_b64 s[14:15], 0
.LBB6_244:                              ;   Parent Loop BB6_171 Depth=1
                                        ;     Parent Loop BB6_202 Depth=2
                                        ; =>    This Inner Loop Header: Depth=3
	s_add_u32 s18, s4, s14
	s_addc_u32 s19, s5, s15
	global_load_ubyte v16, v38, s[18:19]
	s_add_u32 s14, s14, 1
	s_addc_u32 s15, s15, 0
	s_waitcnt vmcnt(0)
	v_and_b32_e32 v37, 0xffff, v16
	v_lshlrev_b64 v[16:17], s12, v[37:38]
	s_add_u32 s12, s12, 8
	s_addc_u32 s13, s13, 0
	v_or_b32_e32 v14, v16, v14
	s_cmp_lg_u32 s16, s14
	v_or_b32_e32 v15, v17, v15
	s_cbranch_scc1 .LBB6_244
	s_branch .LBB6_247
.LBB6_245:                              ;   in Loop: Header=BB6_202 Depth=2
                                        ; implicit-def: $vgpr14_vgpr15
                                        ; implicit-def: $sgpr17
	s_branch .LBB6_248
.LBB6_246:                              ;   in Loop: Header=BB6_202 Depth=2
	v_mov_b32_e32 v14, 0
	v_mov_b32_e32 v15, 0
.LBB6_247:                              ;   in Loop: Header=BB6_202 Depth=2
	s_mov_b32 s17, 0
	s_cbranch_execnz .LBB6_249
.LBB6_248:                              ;   in Loop: Header=BB6_202 Depth=2
	global_load_dwordx2 v[14:15], v38, s[4:5]
	s_add_i32 s17, s16, -8
	s_add_u32 s4, s4, 8
	s_addc_u32 s5, s5, 0
.LBB6_249:                              ;   in Loop: Header=BB6_202 Depth=2
	s_cmp_gt_u32 s17, 7
	s_cbranch_scc1 .LBB6_253
; %bb.250:                              ;   in Loop: Header=BB6_202 Depth=2
	s_cmp_eq_u32 s17, 0
	s_cbranch_scc1 .LBB6_254
; %bb.251:                              ;   in Loop: Header=BB6_202 Depth=2
	v_mov_b32_e32 v16, 0
	s_mov_b64 s[12:13], 0
	v_mov_b32_e32 v17, 0
	s_mov_b64 s[14:15], s[4:5]
.LBB6_252:                              ;   Parent Loop BB6_171 Depth=1
                                        ;     Parent Loop BB6_202 Depth=2
                                        ; =>    This Inner Loop Header: Depth=3
	global_load_ubyte v18, v38, s[14:15]
	s_add_i32 s17, s17, -1
	s_waitcnt vmcnt(0)
	v_and_b32_e32 v37, 0xffff, v18
	v_lshlrev_b64 v[18:19], s12, v[37:38]
	s_add_u32 s12, s12, 8
	s_addc_u32 s13, s13, 0
	s_add_u32 s14, s14, 1
	s_addc_u32 s15, s15, 0
	v_or_b32_e32 v16, v18, v16
	s_cmp_lg_u32 s17, 0
	v_or_b32_e32 v17, v19, v17
	s_cbranch_scc1 .LBB6_252
	s_branch .LBB6_255
.LBB6_253:                              ;   in Loop: Header=BB6_202 Depth=2
	s_branch .LBB6_256
.LBB6_254:                              ;   in Loop: Header=BB6_202 Depth=2
	v_mov_b32_e32 v16, 0
	v_mov_b32_e32 v17, 0
.LBB6_255:                              ;   in Loop: Header=BB6_202 Depth=2
	s_cbranch_execnz .LBB6_257
.LBB6_256:                              ;   in Loop: Header=BB6_202 Depth=2
	global_load_dwordx2 v[16:17], v38, s[4:5]
.LBB6_257:                              ;   in Loop: Header=BB6_202 Depth=2
	v_readfirstlane_b32 s4, v55
	v_mov_b32_e32 v22, 0
	v_mov_b32_e32 v23, 0
	v_cmp_eq_u32_e64 s[4:5], s4, v55
	s_and_saveexec_b64 s[12:13], s[4:5]
	s_cbranch_execz .LBB6_263
; %bb.258:                              ;   in Loop: Header=BB6_202 Depth=2
	global_load_dwordx2 v[20:21], v38, s[28:29] offset:24 glc
	s_waitcnt vmcnt(0)
	buffer_wbinvl1_vol
	global_load_dwordx2 v[18:19], v38, s[28:29] offset:40
	global_load_dwordx2 v[22:23], v38, s[28:29]
	s_waitcnt vmcnt(0)
	v_and_b32_e32 v18, v18, v20
	v_and_b32_e32 v19, v19, v21
	v_mul_lo_u32 v19, v19, 24
	v_mul_hi_u32 v26, v18, 24
	v_mul_lo_u32 v18, v18, 24
	v_add_u32_e32 v19, v26, v19
	v_add_co_u32_e32 v18, vcc, v22, v18
	v_addc_co_u32_e32 v19, vcc, v23, v19, vcc
	global_load_dwordx2 v[18:19], v[18:19], off glc
	s_waitcnt vmcnt(0)
	global_atomic_cmpswap_x2 v[22:23], v38, v[18:21], s[28:29] offset:24 glc
	s_waitcnt vmcnt(0)
	buffer_wbinvl1_vol
	v_cmp_ne_u64_e32 vcc, v[22:23], v[20:21]
	s_and_saveexec_b64 s[14:15], vcc
	s_cbranch_execz .LBB6_262
; %bb.259:                              ;   in Loop: Header=BB6_202 Depth=2
	s_mov_b64 s[16:17], 0
.LBB6_260:                              ;   Parent Loop BB6_171 Depth=1
                                        ;     Parent Loop BB6_202 Depth=2
                                        ; =>    This Inner Loop Header: Depth=3
	s_sleep 1
	global_load_dwordx2 v[18:19], v38, s[28:29] offset:40
	global_load_dwordx2 v[26:27], v38, s[28:29]
	v_mov_b32_e32 v20, v22
	v_mov_b32_e32 v21, v23
	s_waitcnt vmcnt(0)
	v_and_b32_e32 v18, v18, v20
	v_mad_u64_u32 v[22:23], s[18:19], v18, 24, v[26:27]
	v_and_b32_e32 v19, v19, v21
	v_mov_b32_e32 v18, v23
	v_mad_u64_u32 v[18:19], s[18:19], v19, 24, v[18:19]
	v_mov_b32_e32 v23, v18
	global_load_dwordx2 v[18:19], v[22:23], off glc
	s_waitcnt vmcnt(0)
	global_atomic_cmpswap_x2 v[22:23], v38, v[18:21], s[28:29] offset:24 glc
	s_waitcnt vmcnt(0)
	buffer_wbinvl1_vol
	v_cmp_eq_u64_e32 vcc, v[22:23], v[20:21]
	s_or_b64 s[16:17], vcc, s[16:17]
	s_andn2_b64 exec, exec, s[16:17]
	s_cbranch_execnz .LBB6_260
; %bb.261:                              ;   in Loop: Header=BB6_202 Depth=2
	s_or_b64 exec, exec, s[16:17]
.LBB6_262:                              ;   in Loop: Header=BB6_202 Depth=2
	s_or_b64 exec, exec, s[14:15]
.LBB6_263:                              ;   in Loop: Header=BB6_202 Depth=2
	s_or_b64 exec, exec, s[12:13]
	global_load_dwordx2 v[26:27], v38, s[28:29] offset:40
	global_load_dwordx4 v[18:21], v38, s[28:29]
	v_readfirstlane_b32 s12, v22
	v_readfirstlane_b32 s13, v23
	s_mov_b64 s[14:15], exec
	s_waitcnt vmcnt(0)
	v_readfirstlane_b32 s16, v26
	v_readfirstlane_b32 s17, v27
	s_and_b64 s[16:17], s[12:13], s[16:17]
	s_mul_i32 s18, s17, 24
	s_mul_hi_u32 s19, s16, 24
	s_mul_i32 s20, s16, 24
	s_add_i32 s18, s19, s18
	v_mov_b32_e32 v23, s18
	v_add_co_u32_e32 v22, vcc, s20, v18
	v_addc_co_u32_e32 v23, vcc, v19, v23, vcc
	s_and_saveexec_b64 s[18:19], s[4:5]
	s_cbranch_execz .LBB6_265
; %bb.264:                              ;   in Loop: Header=BB6_202 Depth=2
	v_mov_b32_e32 v49, s15
	v_mov_b32_e32 v48, s14
	global_store_dwordx4 v[22:23], v[48:51], off offset:8
.LBB6_265:                              ;   in Loop: Header=BB6_202 Depth=2
	s_or_b64 exec, exec, s[18:19]
	s_lshl_b64 s[14:15], s[16:17], 12
	v_mov_b32_e32 v26, s15
	v_add_co_u32_e32 v20, vcc, s14, v20
	v_addc_co_u32_e32 v21, vcc, v21, v26, vcc
	v_cmp_gt_u64_e64 vcc, s[8:9], 56
	v_or_b32_e32 v27, v2, v25
	s_lshl_b32 s14, s10, 2
	v_cndmask_b32_e32 v2, v27, v2, vcc
	s_add_i32 s14, s14, 28
	v_or_b32_e32 v26, 0, v3
	s_and_b32 s14, s14, 0x1e0
	v_and_b32_e32 v2, 0xffffff1f, v2
	v_cndmask_b32_e32 v3, v26, v3, vcc
	v_or_b32_e32 v2, s14, v2
	v_readfirstlane_b32 s14, v20
	v_readfirstlane_b32 s15, v21
	s_nop 4
	global_store_dwordx4 v40, v[2:5], s[14:15]
	global_store_dwordx4 v40, v[6:9], s[14:15] offset:16
	global_store_dwordx4 v40, v[10:13], s[14:15] offset:32
	;; [unrolled: 1-line block ×3, first 2 shown]
	s_and_saveexec_b64 s[14:15], s[4:5]
	s_cbranch_execz .LBB6_273
; %bb.266:                              ;   in Loop: Header=BB6_202 Depth=2
	global_load_dwordx2 v[10:11], v38, s[28:29] offset:32 glc
	global_load_dwordx2 v[2:3], v38, s[28:29] offset:40
	v_mov_b32_e32 v8, s12
	v_mov_b32_e32 v9, s13
	s_waitcnt vmcnt(0)
	v_readfirstlane_b32 s16, v2
	v_readfirstlane_b32 s17, v3
	s_and_b64 s[16:17], s[16:17], s[12:13]
	s_mul_i32 s17, s17, 24
	s_mul_hi_u32 s18, s16, 24
	s_mul_i32 s16, s16, 24
	s_add_i32 s17, s18, s17
	v_mov_b32_e32 v2, s17
	v_add_co_u32_e32 v6, vcc, s16, v18
	v_addc_co_u32_e32 v7, vcc, v19, v2, vcc
	global_store_dwordx2 v[6:7], v[10:11], off
	s_waitcnt vmcnt(0)
	global_atomic_cmpswap_x2 v[4:5], v38, v[8:11], s[28:29] offset:32 glc
	s_waitcnt vmcnt(0)
	v_cmp_ne_u64_e32 vcc, v[4:5], v[10:11]
	s_and_saveexec_b64 s[16:17], vcc
	s_cbranch_execz .LBB6_269
; %bb.267:                              ;   in Loop: Header=BB6_202 Depth=2
	s_mov_b64 s[18:19], 0
.LBB6_268:                              ;   Parent Loop BB6_171 Depth=1
                                        ;     Parent Loop BB6_202 Depth=2
                                        ; =>    This Inner Loop Header: Depth=3
	s_sleep 1
	global_store_dwordx2 v[6:7], v[4:5], off
	v_mov_b32_e32 v2, s12
	v_mov_b32_e32 v3, s13
	s_waitcnt vmcnt(0)
	global_atomic_cmpswap_x2 v[2:3], v38, v[2:5], s[28:29] offset:32 glc
	s_waitcnt vmcnt(0)
	v_cmp_eq_u64_e32 vcc, v[2:3], v[4:5]
	v_mov_b32_e32 v5, v3
	s_or_b64 s[18:19], vcc, s[18:19]
	v_mov_b32_e32 v4, v2
	s_andn2_b64 exec, exec, s[18:19]
	s_cbranch_execnz .LBB6_268
.LBB6_269:                              ;   in Loop: Header=BB6_202 Depth=2
	s_or_b64 exec, exec, s[16:17]
	global_load_dwordx2 v[2:3], v38, s[28:29] offset:16
	s_mov_b64 s[18:19], exec
	v_mbcnt_lo_u32_b32 v4, s18, 0
	v_mbcnt_hi_u32_b32 v4, s19, v4
	v_cmp_eq_u32_e32 vcc, 0, v4
	s_and_saveexec_b64 s[16:17], vcc
	s_cbranch_execz .LBB6_271
; %bb.270:                              ;   in Loop: Header=BB6_202 Depth=2
	s_bcnt1_i32_b64 s18, s[18:19]
	v_mov_b32_e32 v37, s18
	s_waitcnt vmcnt(0)
	global_atomic_add_x2 v[2:3], v[37:38], off offset:8
.LBB6_271:                              ;   in Loop: Header=BB6_202 Depth=2
	s_or_b64 exec, exec, s[16:17]
	s_waitcnt vmcnt(0)
	global_load_dwordx2 v[4:5], v[2:3], off offset:16
	s_waitcnt vmcnt(0)
	v_cmp_eq_u64_e32 vcc, 0, v[4:5]
	s_cbranch_vccnz .LBB6_273
; %bb.272:                              ;   in Loop: Header=BB6_202 Depth=2
	global_load_dword v37, v[2:3], off offset:24
	s_waitcnt vmcnt(0)
	v_and_b32_e32 v2, 0xffffff, v37
	v_readfirstlane_b32 m0, v2
	global_store_dwordx2 v[4:5], v[37:38], off
	s_sendmsg sendmsg(MSG_INTERRUPT)
.LBB6_273:                              ;   in Loop: Header=BB6_202 Depth=2
	s_or_b64 exec, exec, s[14:15]
	v_add_co_u32_e32 v2, vcc, v20, v40
	v_addc_co_u32_e32 v3, vcc, 0, v21, vcc
	s_branch .LBB6_277
.LBB6_274:                              ;   in Loop: Header=BB6_277 Depth=3
	s_or_b64 exec, exec, s[14:15]
	v_readfirstlane_b32 s14, v4
	s_cmp_eq_u32 s14, 0
	s_cbranch_scc1 .LBB6_276
; %bb.275:                              ;   in Loop: Header=BB6_277 Depth=3
	s_sleep 1
	s_cbranch_execnz .LBB6_277
	s_branch .LBB6_279
.LBB6_276:                              ;   in Loop: Header=BB6_202 Depth=2
	s_branch .LBB6_279
.LBB6_277:                              ;   Parent Loop BB6_171 Depth=1
                                        ;     Parent Loop BB6_202 Depth=2
                                        ; =>    This Inner Loop Header: Depth=3
	v_mov_b32_e32 v4, 1
	s_and_saveexec_b64 s[14:15], s[4:5]
	s_cbranch_execz .LBB6_274
; %bb.278:                              ;   in Loop: Header=BB6_277 Depth=3
	global_load_dword v4, v[22:23], off offset:20 glc
	s_waitcnt vmcnt(0)
	buffer_wbinvl1_vol
	v_and_b32_e32 v4, 1, v4
	s_branch .LBB6_274
.LBB6_279:                              ;   in Loop: Header=BB6_202 Depth=2
	global_load_dwordx4 v[2:5], v[2:3], off
	s_and_saveexec_b64 s[14:15], s[4:5]
	s_cbranch_execz .LBB6_201
; %bb.280:                              ;   in Loop: Header=BB6_202 Depth=2
	global_load_dwordx2 v[6:7], v38, s[28:29] offset:40
	global_load_dwordx2 v[10:11], v38, s[28:29] offset:24 glc
	global_load_dwordx2 v[8:9], v38, s[28:29]
	s_waitcnt vmcnt(0)
	v_mov_b32_e32 v5, s13
	v_add_co_u32_e32 v12, vcc, 1, v6
	v_addc_co_u32_e32 v13, vcc, 0, v7, vcc
	v_add_co_u32_e32 v4, vcc, s12, v12
	v_addc_co_u32_e32 v5, vcc, v13, v5, vcc
	v_cmp_eq_u64_e32 vcc, 0, v[4:5]
	v_cndmask_b32_e32 v5, v5, v13, vcc
	v_cndmask_b32_e32 v4, v4, v12, vcc
	v_and_b32_e32 v7, v5, v7
	v_and_b32_e32 v6, v4, v6
	v_mul_lo_u32 v7, v7, 24
	v_mul_hi_u32 v12, v6, 24
	v_mul_lo_u32 v13, v6, 24
	v_mov_b32_e32 v6, v10
	v_add_u32_e32 v7, v12, v7
	v_add_co_u32_e32 v8, vcc, v8, v13
	v_addc_co_u32_e32 v9, vcc, v9, v7, vcc
	global_store_dwordx2 v[8:9], v[10:11], off
	v_mov_b32_e32 v7, v11
	s_waitcnt vmcnt(0)
	global_atomic_cmpswap_x2 v[6:7], v38, v[4:7], s[28:29] offset:24 glc
	s_waitcnt vmcnt(0)
	v_cmp_ne_u64_e32 vcc, v[6:7], v[10:11]
	s_and_b64 exec, exec, vcc
	s_cbranch_execz .LBB6_201
; %bb.281:                              ;   in Loop: Header=BB6_202 Depth=2
	s_mov_b64 s[4:5], 0
.LBB6_282:                              ;   Parent Loop BB6_171 Depth=1
                                        ;     Parent Loop BB6_202 Depth=2
                                        ; =>    This Inner Loop Header: Depth=3
	s_sleep 1
	global_store_dwordx2 v[8:9], v[6:7], off
	s_waitcnt vmcnt(0)
	global_atomic_cmpswap_x2 v[10:11], v38, v[4:7], s[28:29] offset:24 glc
	s_waitcnt vmcnt(0)
	v_cmp_eq_u64_e32 vcc, v[10:11], v[6:7]
	v_mov_b32_e32 v6, v10
	s_or_b64 s[4:5], vcc, s[4:5]
	v_mov_b32_e32 v7, v11
	s_andn2_b64 exec, exec, s[4:5]
	s_cbranch_execnz .LBB6_282
	s_branch .LBB6_201
.LBB6_283:                              ;   in Loop: Header=BB6_171 Depth=1
	s_branch .LBB6_312
.LBB6_284:                              ;   in Loop: Header=BB6_171 Depth=1
                                        ; implicit-def: $vgpr2_vgpr3
	s_cbranch_execz .LBB6_312
; %bb.285:                              ;   in Loop: Header=BB6_171 Depth=1
	v_readfirstlane_b32 s4, v55
	s_waitcnt vmcnt(0)
	v_mov_b32_e32 v2, 0
	v_mov_b32_e32 v3, 0
	v_cmp_eq_u32_e64 s[4:5], s4, v55
	s_and_saveexec_b64 s[6:7], s[4:5]
	s_cbranch_execz .LBB6_291
; %bb.286:                              ;   in Loop: Header=BB6_171 Depth=1
	global_load_dwordx2 v[4:5], v38, s[28:29] offset:24 glc
	s_waitcnt vmcnt(0)
	buffer_wbinvl1_vol
	global_load_dwordx2 v[2:3], v38, s[28:29] offset:40
	global_load_dwordx2 v[6:7], v38, s[28:29]
	s_waitcnt vmcnt(0)
	v_and_b32_e32 v2, v2, v4
	v_and_b32_e32 v3, v3, v5
	v_mul_lo_u32 v3, v3, 24
	v_mul_hi_u32 v8, v2, 24
	v_mul_lo_u32 v2, v2, 24
	v_add_u32_e32 v3, v8, v3
	v_add_co_u32_e32 v2, vcc, v6, v2
	v_addc_co_u32_e32 v3, vcc, v7, v3, vcc
	global_load_dwordx2 v[2:3], v[2:3], off glc
	s_waitcnt vmcnt(0)
	global_atomic_cmpswap_x2 v[2:3], v38, v[2:5], s[28:29] offset:24 glc
	s_waitcnt vmcnt(0)
	buffer_wbinvl1_vol
	v_cmp_ne_u64_e32 vcc, v[2:3], v[4:5]
	s_and_saveexec_b64 s[8:9], vcc
	s_cbranch_execz .LBB6_290
; %bb.287:                              ;   in Loop: Header=BB6_171 Depth=1
	s_mov_b64 s[10:11], 0
.LBB6_288:                              ;   Parent Loop BB6_171 Depth=1
                                        ; =>  This Inner Loop Header: Depth=2
	s_sleep 1
	global_load_dwordx2 v[6:7], v38, s[28:29] offset:40
	global_load_dwordx2 v[8:9], v38, s[28:29]
	v_mov_b32_e32 v5, v3
	v_mov_b32_e32 v4, v2
	s_waitcnt vmcnt(0)
	v_and_b32_e32 v2, v6, v4
	v_mad_u64_u32 v[2:3], s[12:13], v2, 24, v[8:9]
	v_and_b32_e32 v6, v7, v5
	v_mad_u64_u32 v[6:7], s[12:13], v6, 24, v[3:4]
	v_mov_b32_e32 v3, v6
	global_load_dwordx2 v[2:3], v[2:3], off glc
	s_waitcnt vmcnt(0)
	global_atomic_cmpswap_x2 v[2:3], v38, v[2:5], s[28:29] offset:24 glc
	s_waitcnt vmcnt(0)
	buffer_wbinvl1_vol
	v_cmp_eq_u64_e32 vcc, v[2:3], v[4:5]
	s_or_b64 s[10:11], vcc, s[10:11]
	s_andn2_b64 exec, exec, s[10:11]
	s_cbranch_execnz .LBB6_288
; %bb.289:                              ;   in Loop: Header=BB6_171 Depth=1
	s_or_b64 exec, exec, s[10:11]
.LBB6_290:                              ;   in Loop: Header=BB6_171 Depth=1
	s_or_b64 exec, exec, s[8:9]
.LBB6_291:                              ;   in Loop: Header=BB6_171 Depth=1
	s_or_b64 exec, exec, s[6:7]
	global_load_dwordx2 v[8:9], v38, s[28:29] offset:40
	global_load_dwordx4 v[4:7], v38, s[28:29]
	v_readfirstlane_b32 s6, v2
	v_readfirstlane_b32 s7, v3
	s_mov_b64 s[8:9], exec
	s_waitcnt vmcnt(0)
	v_readfirstlane_b32 s10, v8
	v_readfirstlane_b32 s11, v9
	s_and_b64 s[10:11], s[6:7], s[10:11]
	s_mul_i32 s12, s11, 24
	s_mul_hi_u32 s13, s10, 24
	s_mul_i32 s14, s10, 24
	s_add_i32 s12, s13, s12
	v_mov_b32_e32 v2, s12
	v_add_co_u32_e32 v8, vcc, s14, v4
	v_addc_co_u32_e32 v9, vcc, v5, v2, vcc
	s_and_saveexec_b64 s[12:13], s[4:5]
	s_cbranch_execz .LBB6_293
; %bb.292:                              ;   in Loop: Header=BB6_171 Depth=1
	v_mov_b32_e32 v49, s9
	v_mov_b32_e32 v48, s8
	global_store_dwordx4 v[8:9], v[48:51], off offset:8
.LBB6_293:                              ;   in Loop: Header=BB6_171 Depth=1
	s_or_b64 exec, exec, s[12:13]
	s_lshl_b64 s[8:9], s[10:11], 12
	v_mov_b32_e32 v2, s9
	v_add_co_u32_e32 v6, vcc, s8, v6
	v_addc_co_u32_e32 v7, vcc, v7, v2, vcc
	v_and_or_b32 v0, v0, s23, 32
	v_mov_b32_e32 v2, v38
	v_mov_b32_e32 v3, v38
	v_readfirstlane_b32 s8, v6
	v_readfirstlane_b32 s9, v7
	s_nop 4
	global_store_dwordx4 v40, v[0:3], s[8:9]
	s_nop 0
	v_mov_b32_e32 v0, s36
	v_mov_b32_e32 v1, s37
	;; [unrolled: 1-line block ×4, first 2 shown]
	global_store_dwordx4 v40, v[0:3], s[8:9] offset:16
	global_store_dwordx4 v40, v[0:3], s[8:9] offset:32
	;; [unrolled: 1-line block ×3, first 2 shown]
	s_and_saveexec_b64 s[8:9], s[4:5]
	s_cbranch_execz .LBB6_301
; %bb.294:                              ;   in Loop: Header=BB6_171 Depth=1
	global_load_dwordx2 v[12:13], v38, s[28:29] offset:32 glc
	global_load_dwordx2 v[0:1], v38, s[28:29] offset:40
	v_mov_b32_e32 v10, s6
	v_mov_b32_e32 v11, s7
	s_waitcnt vmcnt(0)
	v_readfirstlane_b32 s10, v0
	v_readfirstlane_b32 s11, v1
	s_and_b64 s[10:11], s[10:11], s[6:7]
	s_mul_i32 s11, s11, 24
	s_mul_hi_u32 s12, s10, 24
	s_mul_i32 s10, s10, 24
	s_add_i32 s11, s12, s11
	v_mov_b32_e32 v0, s11
	v_add_co_u32_e32 v4, vcc, s10, v4
	v_addc_co_u32_e32 v5, vcc, v5, v0, vcc
	global_store_dwordx2 v[4:5], v[12:13], off
	s_waitcnt vmcnt(0)
	global_atomic_cmpswap_x2 v[2:3], v38, v[10:13], s[28:29] offset:32 glc
	s_waitcnt vmcnt(0)
	v_cmp_ne_u64_e32 vcc, v[2:3], v[12:13]
	s_and_saveexec_b64 s[10:11], vcc
	s_cbranch_execz .LBB6_297
; %bb.295:                              ;   in Loop: Header=BB6_171 Depth=1
	s_mov_b64 s[12:13], 0
.LBB6_296:                              ;   Parent Loop BB6_171 Depth=1
                                        ; =>  This Inner Loop Header: Depth=2
	s_sleep 1
	global_store_dwordx2 v[4:5], v[2:3], off
	v_mov_b32_e32 v0, s6
	v_mov_b32_e32 v1, s7
	s_waitcnt vmcnt(0)
	global_atomic_cmpswap_x2 v[0:1], v38, v[0:3], s[28:29] offset:32 glc
	s_waitcnt vmcnt(0)
	v_cmp_eq_u64_e32 vcc, v[0:1], v[2:3]
	v_mov_b32_e32 v3, v1
	s_or_b64 s[12:13], vcc, s[12:13]
	v_mov_b32_e32 v2, v0
	s_andn2_b64 exec, exec, s[12:13]
	s_cbranch_execnz .LBB6_296
.LBB6_297:                              ;   in Loop: Header=BB6_171 Depth=1
	s_or_b64 exec, exec, s[10:11]
	global_load_dwordx2 v[0:1], v38, s[28:29] offset:16
	s_mov_b64 s[12:13], exec
	v_mbcnt_lo_u32_b32 v2, s12, 0
	v_mbcnt_hi_u32_b32 v2, s13, v2
	v_cmp_eq_u32_e32 vcc, 0, v2
	s_and_saveexec_b64 s[10:11], vcc
	s_cbranch_execz .LBB6_299
; %bb.298:                              ;   in Loop: Header=BB6_171 Depth=1
	s_bcnt1_i32_b64 s12, s[12:13]
	v_mov_b32_e32 v37, s12
	s_waitcnt vmcnt(0)
	global_atomic_add_x2 v[0:1], v[37:38], off offset:8
.LBB6_299:                              ;   in Loop: Header=BB6_171 Depth=1
	s_or_b64 exec, exec, s[10:11]
	s_waitcnt vmcnt(0)
	global_load_dwordx2 v[2:3], v[0:1], off offset:16
	s_waitcnt vmcnt(0)
	v_cmp_eq_u64_e32 vcc, 0, v[2:3]
	s_cbranch_vccnz .LBB6_301
; %bb.300:                              ;   in Loop: Header=BB6_171 Depth=1
	global_load_dword v37, v[0:1], off offset:24
	s_waitcnt vmcnt(0)
	v_and_b32_e32 v0, 0xffffff, v37
	v_readfirstlane_b32 m0, v0
	global_store_dwordx2 v[2:3], v[37:38], off
	s_sendmsg sendmsg(MSG_INTERRUPT)
.LBB6_301:                              ;   in Loop: Header=BB6_171 Depth=1
	s_or_b64 exec, exec, s[8:9]
	v_add_co_u32_e32 v0, vcc, v6, v40
	v_addc_co_u32_e32 v1, vcc, 0, v7, vcc
	s_branch .LBB6_305
.LBB6_302:                              ;   in Loop: Header=BB6_305 Depth=2
	s_or_b64 exec, exec, s[8:9]
	v_readfirstlane_b32 s8, v2
	s_cmp_eq_u32 s8, 0
	s_cbranch_scc1 .LBB6_304
; %bb.303:                              ;   in Loop: Header=BB6_305 Depth=2
	s_sleep 1
	s_cbranch_execnz .LBB6_305
	s_branch .LBB6_307
.LBB6_304:                              ;   in Loop: Header=BB6_171 Depth=1
	s_branch .LBB6_307
.LBB6_305:                              ;   Parent Loop BB6_171 Depth=1
                                        ; =>  This Inner Loop Header: Depth=2
	v_mov_b32_e32 v2, 1
	s_and_saveexec_b64 s[8:9], s[4:5]
	s_cbranch_execz .LBB6_302
; %bb.306:                              ;   in Loop: Header=BB6_305 Depth=2
	global_load_dword v2, v[8:9], off offset:20 glc
	s_waitcnt vmcnt(0)
	buffer_wbinvl1_vol
	v_and_b32_e32 v2, 1, v2
	s_branch .LBB6_302
.LBB6_307:                              ;   in Loop: Header=BB6_171 Depth=1
	global_load_dwordx2 v[2:3], v[0:1], off
	s_and_saveexec_b64 s[8:9], s[4:5]
	s_cbranch_execz .LBB6_311
; %bb.308:                              ;   in Loop: Header=BB6_171 Depth=1
	global_load_dwordx2 v[0:1], v38, s[28:29] offset:40
	global_load_dwordx2 v[8:9], v38, s[28:29] offset:24 glc
	global_load_dwordx2 v[10:11], v38, s[28:29]
	v_mov_b32_e32 v5, s7
	s_waitcnt vmcnt(0)
	v_add_co_u32_e32 v6, vcc, 1, v0
	v_addc_co_u32_e32 v7, vcc, 0, v1, vcc
	v_add_co_u32_e32 v4, vcc, s6, v6
	v_addc_co_u32_e32 v5, vcc, v7, v5, vcc
	v_cmp_eq_u64_e32 vcc, 0, v[4:5]
	v_cndmask_b32_e32 v5, v5, v7, vcc
	v_cndmask_b32_e32 v4, v4, v6, vcc
	v_and_b32_e32 v1, v5, v1
	v_and_b32_e32 v0, v4, v0
	v_mul_lo_u32 v1, v1, 24
	v_mul_hi_u32 v7, v0, 24
	v_mul_lo_u32 v0, v0, 24
	v_mov_b32_e32 v6, v8
	v_add_u32_e32 v1, v7, v1
	v_add_co_u32_e32 v0, vcc, v10, v0
	v_addc_co_u32_e32 v1, vcc, v11, v1, vcc
	global_store_dwordx2 v[0:1], v[8:9], off
	v_mov_b32_e32 v7, v9
	s_waitcnt vmcnt(0)
	global_atomic_cmpswap_x2 v[6:7], v38, v[4:7], s[28:29] offset:24 glc
	s_waitcnt vmcnt(0)
	v_cmp_ne_u64_e32 vcc, v[6:7], v[8:9]
	s_and_b64 exec, exec, vcc
	s_cbranch_execz .LBB6_311
; %bb.309:                              ;   in Loop: Header=BB6_171 Depth=1
	s_mov_b64 s[4:5], 0
.LBB6_310:                              ;   Parent Loop BB6_171 Depth=1
                                        ; =>  This Inner Loop Header: Depth=2
	s_sleep 1
	global_store_dwordx2 v[0:1], v[6:7], off
	s_waitcnt vmcnt(0)
	global_atomic_cmpswap_x2 v[8:9], v38, v[4:7], s[28:29] offset:24 glc
	s_waitcnt vmcnt(0)
	v_cmp_eq_u64_e32 vcc, v[8:9], v[6:7]
	v_mov_b32_e32 v6, v8
	s_or_b64 s[4:5], vcc, s[4:5]
	v_mov_b32_e32 v7, v9
	s_andn2_b64 exec, exec, s[4:5]
	s_cbranch_execnz .LBB6_310
.LBB6_311:                              ;   in Loop: Header=BB6_171 Depth=1
	s_or_b64 exec, exec, s[8:9]
.LBB6_312:                              ;   in Loop: Header=BB6_171 Depth=1
	v_readfirstlane_b32 s4, v55
	s_waitcnt vmcnt(0)
	v_mov_b32_e32 v0, 0
	v_mov_b32_e32 v1, 0
	v_cmp_eq_u32_e64 s[4:5], s4, v55
	s_and_saveexec_b64 s[6:7], s[4:5]
	s_cbranch_execz .LBB6_318
; %bb.313:                              ;   in Loop: Header=BB6_171 Depth=1
	global_load_dwordx2 v[6:7], v38, s[28:29] offset:24 glc
	s_waitcnt vmcnt(0)
	buffer_wbinvl1_vol
	global_load_dwordx2 v[0:1], v38, s[28:29] offset:40
	global_load_dwordx2 v[4:5], v38, s[28:29]
	s_waitcnt vmcnt(0)
	v_and_b32_e32 v0, v0, v6
	v_and_b32_e32 v1, v1, v7
	v_mul_lo_u32 v1, v1, 24
	v_mul_hi_u32 v8, v0, 24
	v_mul_lo_u32 v0, v0, 24
	v_add_u32_e32 v1, v8, v1
	v_add_co_u32_e32 v0, vcc, v4, v0
	v_addc_co_u32_e32 v1, vcc, v5, v1, vcc
	global_load_dwordx2 v[4:5], v[0:1], off glc
	s_waitcnt vmcnt(0)
	global_atomic_cmpswap_x2 v[0:1], v38, v[4:7], s[28:29] offset:24 glc
	s_waitcnt vmcnt(0)
	buffer_wbinvl1_vol
	v_cmp_ne_u64_e32 vcc, v[0:1], v[6:7]
	s_and_saveexec_b64 s[8:9], vcc
	s_cbranch_execz .LBB6_317
; %bb.314:                              ;   in Loop: Header=BB6_171 Depth=1
	s_mov_b64 s[10:11], 0
.LBB6_315:                              ;   Parent Loop BB6_171 Depth=1
                                        ; =>  This Inner Loop Header: Depth=2
	s_sleep 1
	global_load_dwordx2 v[4:5], v38, s[28:29] offset:40
	global_load_dwordx2 v[8:9], v38, s[28:29]
	v_mov_b32_e32 v7, v1
	v_mov_b32_e32 v6, v0
	s_waitcnt vmcnt(0)
	v_and_b32_e32 v0, v4, v6
	v_mad_u64_u32 v[0:1], s[12:13], v0, 24, v[8:9]
	v_and_b32_e32 v4, v5, v7
	v_mad_u64_u32 v[4:5], s[12:13], v4, 24, v[1:2]
	v_mov_b32_e32 v1, v4
	global_load_dwordx2 v[4:5], v[0:1], off glc
	s_waitcnt vmcnt(0)
	global_atomic_cmpswap_x2 v[0:1], v38, v[4:7], s[28:29] offset:24 glc
	s_waitcnt vmcnt(0)
	buffer_wbinvl1_vol
	v_cmp_eq_u64_e32 vcc, v[0:1], v[6:7]
	s_or_b64 s[10:11], vcc, s[10:11]
	s_andn2_b64 exec, exec, s[10:11]
	s_cbranch_execnz .LBB6_315
; %bb.316:                              ;   in Loop: Header=BB6_171 Depth=1
	s_or_b64 exec, exec, s[10:11]
.LBB6_317:                              ;   in Loop: Header=BB6_171 Depth=1
	s_or_b64 exec, exec, s[8:9]
.LBB6_318:                              ;   in Loop: Header=BB6_171 Depth=1
	s_or_b64 exec, exec, s[6:7]
	global_load_dwordx2 v[4:5], v38, s[28:29] offset:40
	global_load_dwordx4 v[6:9], v38, s[28:29]
	v_readfirstlane_b32 s6, v0
	v_readfirstlane_b32 s7, v1
	s_mov_b64 s[8:9], exec
	s_waitcnt vmcnt(0)
	v_readfirstlane_b32 s10, v4
	v_readfirstlane_b32 s11, v5
	s_and_b64 s[10:11], s[6:7], s[10:11]
	s_mul_i32 s12, s11, 24
	s_mul_hi_u32 s13, s10, 24
	s_mul_i32 s14, s10, 24
	s_add_i32 s12, s13, s12
	v_mov_b32_e32 v0, s12
	v_add_co_u32_e32 v10, vcc, s14, v6
	v_addc_co_u32_e32 v11, vcc, v7, v0, vcc
	s_and_saveexec_b64 s[12:13], s[4:5]
	s_cbranch_execz .LBB6_320
; %bb.319:                              ;   in Loop: Header=BB6_171 Depth=1
	v_mov_b32_e32 v49, s9
	v_mov_b32_e32 v48, s8
	global_store_dwordx4 v[10:11], v[48:51], off offset:8
.LBB6_320:                              ;   in Loop: Header=BB6_171 Depth=1
	s_or_b64 exec, exec, s[12:13]
	s_lshl_b64 s[8:9], s[10:11], 12
	v_mov_b32_e32 v0, s9
	v_add_co_u32_e32 v1, vcc, s8, v8
	v_addc_co_u32_e32 v0, vcc, v9, v0, vcc
	v_and_or_b32 v2, v2, s40, 34
	s_waitcnt lgkmcnt(0)
	v_ashrrev_i32_e32 v5, 31, v24
	v_mov_b32_e32 v4, v24
	v_readfirstlane_b32 s8, v1
	v_readfirstlane_b32 s9, v0
	s_nop 4
	global_store_dwordx4 v40, v[2:5], s[8:9]
	v_mov_b32_e32 v0, s36
	v_mov_b32_e32 v1, s37
	;; [unrolled: 1-line block ×4, first 2 shown]
	global_store_dwordx4 v40, v[0:3], s[8:9] offset:16
	global_store_dwordx4 v40, v[0:3], s[8:9] offset:32
	global_store_dwordx4 v40, v[0:3], s[8:9] offset:48
	s_and_saveexec_b64 s[8:9], s[4:5]
	s_cbranch_execz .LBB6_328
; %bb.321:                              ;   in Loop: Header=BB6_171 Depth=1
	global_load_dwordx2 v[14:15], v38, s[28:29] offset:32 glc
	global_load_dwordx2 v[0:1], v38, s[28:29] offset:40
	v_mov_b32_e32 v12, s6
	v_mov_b32_e32 v13, s7
	s_waitcnt vmcnt(0)
	v_readfirstlane_b32 s10, v0
	v_readfirstlane_b32 s11, v1
	s_and_b64 s[10:11], s[10:11], s[6:7]
	s_mul_i32 s11, s11, 24
	s_mul_hi_u32 s12, s10, 24
	s_mul_i32 s10, s10, 24
	s_add_i32 s11, s12, s11
	v_mov_b32_e32 v0, s11
	v_add_co_u32_e32 v4, vcc, s10, v6
	v_addc_co_u32_e32 v5, vcc, v7, v0, vcc
	global_store_dwordx2 v[4:5], v[14:15], off
	s_waitcnt vmcnt(0)
	global_atomic_cmpswap_x2 v[2:3], v38, v[12:15], s[28:29] offset:32 glc
	s_waitcnt vmcnt(0)
	v_cmp_ne_u64_e32 vcc, v[2:3], v[14:15]
	s_and_saveexec_b64 s[10:11], vcc
	s_cbranch_execz .LBB6_324
; %bb.322:                              ;   in Loop: Header=BB6_171 Depth=1
	s_mov_b64 s[12:13], 0
.LBB6_323:                              ;   Parent Loop BB6_171 Depth=1
                                        ; =>  This Inner Loop Header: Depth=2
	s_sleep 1
	global_store_dwordx2 v[4:5], v[2:3], off
	v_mov_b32_e32 v0, s6
	v_mov_b32_e32 v1, s7
	s_waitcnt vmcnt(0)
	global_atomic_cmpswap_x2 v[0:1], v38, v[0:3], s[28:29] offset:32 glc
	s_waitcnt vmcnt(0)
	v_cmp_eq_u64_e32 vcc, v[0:1], v[2:3]
	v_mov_b32_e32 v3, v1
	s_or_b64 s[12:13], vcc, s[12:13]
	v_mov_b32_e32 v2, v0
	s_andn2_b64 exec, exec, s[12:13]
	s_cbranch_execnz .LBB6_323
.LBB6_324:                              ;   in Loop: Header=BB6_171 Depth=1
	s_or_b64 exec, exec, s[10:11]
	global_load_dwordx2 v[0:1], v38, s[28:29] offset:16
	s_mov_b64 s[12:13], exec
	v_mbcnt_lo_u32_b32 v2, s12, 0
	v_mbcnt_hi_u32_b32 v2, s13, v2
	v_cmp_eq_u32_e32 vcc, 0, v2
	s_and_saveexec_b64 s[10:11], vcc
	s_cbranch_execz .LBB6_326
; %bb.325:                              ;   in Loop: Header=BB6_171 Depth=1
	s_bcnt1_i32_b64 s12, s[12:13]
	v_mov_b32_e32 v37, s12
	s_waitcnt vmcnt(0)
	global_atomic_add_x2 v[0:1], v[37:38], off offset:8
.LBB6_326:                              ;   in Loop: Header=BB6_171 Depth=1
	s_or_b64 exec, exec, s[10:11]
	s_waitcnt vmcnt(0)
	global_load_dwordx2 v[2:3], v[0:1], off offset:16
	s_waitcnt vmcnt(0)
	v_cmp_eq_u64_e32 vcc, 0, v[2:3]
	s_cbranch_vccnz .LBB6_328
; %bb.327:                              ;   in Loop: Header=BB6_171 Depth=1
	global_load_dword v37, v[0:1], off offset:24
	s_waitcnt vmcnt(0)
	v_and_b32_e32 v0, 0xffffff, v37
	v_readfirstlane_b32 m0, v0
	global_store_dwordx2 v[2:3], v[37:38], off
	s_sendmsg sendmsg(MSG_INTERRUPT)
.LBB6_328:                              ;   in Loop: Header=BB6_171 Depth=1
	s_or_b64 exec, exec, s[8:9]
	s_branch .LBB6_332
.LBB6_329:                              ;   in Loop: Header=BB6_332 Depth=2
	s_or_b64 exec, exec, s[8:9]
	v_readfirstlane_b32 s8, v0
	s_cmp_eq_u32 s8, 0
	s_cbranch_scc1 .LBB6_331
; %bb.330:                              ;   in Loop: Header=BB6_332 Depth=2
	s_sleep 1
	s_cbranch_execnz .LBB6_332
	s_branch .LBB6_334
.LBB6_331:                              ;   in Loop: Header=BB6_171 Depth=1
	s_branch .LBB6_334
.LBB6_332:                              ;   Parent Loop BB6_171 Depth=1
                                        ; =>  This Inner Loop Header: Depth=2
	v_mov_b32_e32 v0, 1
	s_and_saveexec_b64 s[8:9], s[4:5]
	s_cbranch_execz .LBB6_329
; %bb.333:                              ;   in Loop: Header=BB6_332 Depth=2
	global_load_dword v0, v[10:11], off offset:20 glc
	s_waitcnt vmcnt(0)
	buffer_wbinvl1_vol
	v_and_b32_e32 v0, 1, v0
	s_branch .LBB6_329
.LBB6_334:                              ;   in Loop: Header=BB6_171 Depth=1
	s_and_saveexec_b64 s[8:9], s[4:5]
	s_cbranch_execz .LBB6_170
; %bb.335:                              ;   in Loop: Header=BB6_171 Depth=1
	global_load_dwordx2 v[2:3], v38, s[28:29] offset:40
	global_load_dwordx2 v[6:7], v38, s[28:29] offset:24 glc
	global_load_dwordx2 v[4:5], v38, s[28:29]
	v_mov_b32_e32 v1, s7
	s_waitcnt vmcnt(2)
	v_add_co_u32_e32 v8, vcc, 1, v2
	v_addc_co_u32_e32 v9, vcc, 0, v3, vcc
	v_add_co_u32_e32 v0, vcc, s6, v8
	v_addc_co_u32_e32 v1, vcc, v9, v1, vcc
	v_cmp_eq_u64_e32 vcc, 0, v[0:1]
	v_cndmask_b32_e32 v1, v1, v9, vcc
	v_cndmask_b32_e32 v0, v0, v8, vcc
	v_and_b32_e32 v3, v1, v3
	v_and_b32_e32 v2, v0, v2
	v_mul_lo_u32 v3, v3, 24
	v_mul_hi_u32 v8, v2, 24
	v_mul_lo_u32 v9, v2, 24
	s_waitcnt vmcnt(1)
	v_mov_b32_e32 v2, v6
	v_add_u32_e32 v3, v8, v3
	s_waitcnt vmcnt(0)
	v_add_co_u32_e32 v4, vcc, v4, v9
	v_addc_co_u32_e32 v5, vcc, v5, v3, vcc
	global_store_dwordx2 v[4:5], v[6:7], off
	v_mov_b32_e32 v3, v7
	s_waitcnt vmcnt(0)
	global_atomic_cmpswap_x2 v[2:3], v38, v[0:3], s[28:29] offset:24 glc
	s_waitcnt vmcnt(0)
	v_cmp_ne_u64_e32 vcc, v[2:3], v[6:7]
	s_and_b64 exec, exec, vcc
	s_cbranch_execz .LBB6_170
; %bb.336:                              ;   in Loop: Header=BB6_171 Depth=1
	s_mov_b64 s[4:5], 0
.LBB6_337:                              ;   Parent Loop BB6_171 Depth=1
                                        ; =>  This Inner Loop Header: Depth=2
	s_sleep 1
	global_store_dwordx2 v[4:5], v[2:3], off
	s_waitcnt vmcnt(0)
	global_atomic_cmpswap_x2 v[6:7], v38, v[0:3], s[28:29] offset:24 glc
	s_waitcnt vmcnt(0)
	v_cmp_eq_u64_e32 vcc, v[6:7], v[2:3]
	v_mov_b32_e32 v2, v6
	s_or_b64 s[4:5], vcc, s[4:5]
	v_mov_b32_e32 v3, v7
	s_andn2_b64 exec, exec, s[4:5]
	s_cbranch_execnz .LBB6_337
	s_branch .LBB6_170
.LBB6_338:
	buffer_load_dword v40, off, s[0:3], s33 ; 4-byte Folded Reload
	v_readlane_b32 s30, v41, 7
	v_readlane_b32 s31, v41, 8
	;; [unrolled: 1-line block ×10, first 2 shown]
	s_or_saveexec_b64 s[6:7], -1
	buffer_load_dword v41, off, s[0:3], s33 offset:4 ; 4-byte Folded Reload
	s_mov_b64 exec, s[6:7]
	s_addk_i32 s32, 0xfc00
	s_mov_b32 s33, s4
	s_waitcnt vmcnt(0) lgkmcnt(0)
	s_setpc_b64 s[30:31]
.Lfunc_end6:
	.size	_ZN8migraphx4testlsIKNS_13basic_printerIZNS_4coutEvEUlT_E_EEEERS3_S7_RKNS0_10expressionINS0_14lhs_expressionIRNS_5arrayIiLj3EEENS0_3nopEEESC_NS0_5equalEEE, .Lfunc_end6-_ZN8migraphx4testlsIKNS_13basic_printerIZNS_4coutEvEUlT_E_EEEERS3_S7_RKNS0_10expressionINS0_14lhs_expressionIRNS_5arrayIiLj3EEENS0_3nopEEESC_NS0_5equalEEE
                                        ; -- End function
	.section	.AMDGPU.csdata,"",@progbits
; Function info:
; codeLenInByte = 11836
; NumSgprs: 45
; NumVgprs: 56
; ScratchSize: 16
; MemoryBound: 0
	.text
	.p2align	2                               ; -- Begin function _ZN8migraphx4test12test_manager6failedINS0_10expressionINS0_14lhs_expressionIRNS_5arrayIiLj3EEENS0_3nopEEES7_NS0_5equalEEEPFvvEEEvRKT_PKcSI_SI_iT0_
	.type	_ZN8migraphx4test12test_manager6failedINS0_10expressionINS0_14lhs_expressionIRNS_5arrayIiLj3EEENS0_3nopEEES7_NS0_5equalEEEPFvvEEEvRKT_PKcSI_SI_iT0_,@function
_ZN8migraphx4test12test_manager6failedINS0_10expressionINS0_14lhs_expressionIRNS_5arrayIiLj3EEENS0_3nopEEES7_NS0_5equalEEEPFvvEEEvRKT_PKcSI_SI_iT0_: ; @_ZN8migraphx4test12test_manager6failedINS0_10expressionINS0_14lhs_expressionIRNS_5arrayIiLj3EEENS0_3nopEEES7_NS0_5equalEEEPFvvEEEvRKT_PKcSI_SI_iT0_
; %bb.0:
	s_waitcnt vmcnt(0) expcnt(0) lgkmcnt(0)
	s_mov_b32 s4, s33
	s_mov_b32 s33, s32
	s_or_saveexec_b64 s[6:7], -1
	buffer_store_dword v45, off, s[0:3], s33 ; 4-byte Folded Spill
	s_mov_b64 exec, s[6:7]
	v_writelane_b32 v45, s4, 2
	v_writelane_b32 v45, s30, 0
	s_addk_i32 s32, 0x400
	v_writelane_b32 v45, s31, 1
	v_mov_b32_e32 v37, v3
	v_mov_b32_e32 v36, v2
	;; [unrolled: 1-line block ×4, first 2 shown]
	flat_load_dwordx4 v[0:3], v[36:37]
	s_mov_b64 s[6:7], -1
	s_waitcnt vmcnt(0) lgkmcnt(0)
	flat_load_dword v9, v[0:1]
	flat_load_dword v10, v[2:3]
	s_waitcnt vmcnt(0) lgkmcnt(0)
	v_cmp_eq_u32_e32 vcc, v9, v10
	s_and_saveexec_b64 s[4:5], vcc
	s_cbranch_execz .LBB7_4
; %bb.1:
	flat_load_dword v9, v[0:1] offset:4
	flat_load_dword v10, v[2:3] offset:4
	s_waitcnt vmcnt(0) lgkmcnt(0)
	v_cmp_ne_u32_e64 s[6:7], v9, v10
	v_cmp_eq_u32_e32 vcc, v9, v10
	s_and_saveexec_b64 s[10:11], vcc
	s_cbranch_execz .LBB7_3
; %bb.2:
	flat_load_dword v9, v[0:1] offset:8
	flat_load_dword v10, v[2:3] offset:8
	s_andn2_b64 s[6:7], s[6:7], exec
	s_waitcnt vmcnt(0) lgkmcnt(0)
	v_cmp_ne_u32_e32 vcc, v9, v10
	s_and_b64 s[16:17], vcc, exec
	s_or_b64 s[6:7], s[6:7], s[16:17]
.LBB7_3:
	s_or_b64 exec, exec, s[10:11]
	s_orn2_b64 s[6:7], s[6:7], exec
.LBB7_4:
	s_or_b64 exec, exec, s[4:5]
	s_and_saveexec_b64 s[44:45], s[6:7]
	s_cbranch_execz .LBB7_1733
; %bb.5:
	v_and_b32_e32 v0, 0x3ff, v31
	v_cmp_eq_u32_e32 vcc, 0, v0
	s_and_saveexec_b64 s[46:47], vcc
	s_cbranch_execz .LBB7_1732
; %bb.6:
	s_load_dwordx2 s[48:49], s[8:9], 0x50
	v_mbcnt_lo_u32_b32 v0, -1, 0
	v_mbcnt_hi_u32_b32 v44, -1, v0
	v_readfirstlane_b32 s4, v44
	v_mov_b32_e32 v11, 0
	v_mov_b32_e32 v12, 0
	v_cmp_eq_u32_e64 s[4:5], s4, v44
	s_and_saveexec_b64 s[6:7], s[4:5]
	s_cbranch_execz .LBB7_12
; %bb.7:
	v_mov_b32_e32 v0, 0
	s_waitcnt lgkmcnt(0)
	global_load_dwordx2 v[13:14], v0, s[48:49] offset:24 glc
	s_waitcnt vmcnt(0)
	buffer_wbinvl1_vol
	global_load_dwordx2 v[1:2], v0, s[48:49] offset:40
	global_load_dwordx2 v[9:10], v0, s[48:49]
	s_waitcnt vmcnt(1)
	v_and_b32_e32 v1, v1, v13
	v_and_b32_e32 v2, v2, v14
	v_mul_lo_u32 v2, v2, 24
	v_mul_hi_u32 v3, v1, 24
	v_mul_lo_u32 v1, v1, 24
	v_add_u32_e32 v2, v3, v2
	s_waitcnt vmcnt(0)
	v_add_co_u32_e32 v1, vcc, v9, v1
	v_addc_co_u32_e32 v2, vcc, v10, v2, vcc
	global_load_dwordx2 v[11:12], v[1:2], off glc
	s_waitcnt vmcnt(0)
	global_atomic_cmpswap_x2 v[11:12], v0, v[11:14], s[48:49] offset:24 glc
	s_waitcnt vmcnt(0)
	buffer_wbinvl1_vol
	v_cmp_ne_u64_e32 vcc, v[11:12], v[13:14]
	s_and_saveexec_b64 s[10:11], vcc
	s_cbranch_execz .LBB7_11
; %bb.8:
	s_mov_b64 s[16:17], 0
.LBB7_9:                                ; =>This Inner Loop Header: Depth=1
	s_sleep 1
	global_load_dwordx2 v[1:2], v0, s[48:49] offset:40
	global_load_dwordx2 v[9:10], v0, s[48:49]
	v_mov_b32_e32 v14, v12
	v_mov_b32_e32 v13, v11
	s_waitcnt vmcnt(1)
	v_and_b32_e32 v1, v1, v13
	s_waitcnt vmcnt(0)
	v_mad_u64_u32 v[9:10], s[18:19], v1, 24, v[9:10]
	v_and_b32_e32 v2, v2, v14
	v_mov_b32_e32 v1, v10
	v_mad_u64_u32 v[1:2], s[18:19], v2, 24, v[1:2]
	v_mov_b32_e32 v10, v1
	global_load_dwordx2 v[11:12], v[9:10], off glc
	s_waitcnt vmcnt(0)
	global_atomic_cmpswap_x2 v[11:12], v0, v[11:14], s[48:49] offset:24 glc
	s_waitcnt vmcnt(0)
	buffer_wbinvl1_vol
	v_cmp_eq_u64_e32 vcc, v[11:12], v[13:14]
	s_or_b64 s[16:17], vcc, s[16:17]
	s_andn2_b64 exec, exec, s[16:17]
	s_cbranch_execnz .LBB7_9
; %bb.10:
	s_or_b64 exec, exec, s[16:17]
.LBB7_11:
	s_or_b64 exec, exec, s[10:11]
.LBB7_12:
	s_or_b64 exec, exec, s[6:7]
	v_mov_b32_e32 v10, 0
	s_waitcnt lgkmcnt(0)
	global_load_dwordx2 v[13:14], v10, s[48:49] offset:40
	global_load_dwordx4 v[0:3], v10, s[48:49]
	v_readfirstlane_b32 s6, v11
	v_readfirstlane_b32 s7, v12
	s_mov_b64 s[10:11], exec
	s_waitcnt vmcnt(1)
	v_readfirstlane_b32 s16, v13
	v_readfirstlane_b32 s17, v14
	s_and_b64 s[16:17], s[6:7], s[16:17]
	s_mul_i32 s15, s17, 24
	s_mul_hi_u32 s18, s16, 24
	s_mul_i32 s19, s16, 24
	s_add_i32 s15, s18, s15
	v_mov_b32_e32 v9, s15
	s_waitcnt vmcnt(0)
	v_add_co_u32_e32 v13, vcc, s19, v0
	v_addc_co_u32_e32 v14, vcc, v1, v9, vcc
	s_and_saveexec_b64 s[18:19], s[4:5]
	s_cbranch_execz .LBB7_14
; %bb.13:
	v_mov_b32_e32 v16, s11
	v_mov_b32_e32 v15, s10
	v_mov_b32_e32 v17, 2
	v_mov_b32_e32 v18, 1
	global_store_dwordx4 v[13:14], v[15:18], off offset:8
.LBB7_14:
	s_or_b64 exec, exec, s[18:19]
	s_lshl_b64 s[10:11], s[16:17], 12
	v_mov_b32_e32 v9, s11
	v_add_co_u32_e32 v2, vcc, s10, v2
	v_addc_co_u32_e32 v3, vcc, v3, v9, vcc
	s_mov_b32 s16, 0
	v_lshlrev_b32_e32 v40, 6, v44
	v_mov_b32_e32 v9, 33
	v_mov_b32_e32 v11, v10
	;; [unrolled: 1-line block ×3, first 2 shown]
	v_readfirstlane_b32 s10, v2
	v_readfirstlane_b32 s11, v3
	v_add_co_u32_e32 v15, vcc, v2, v40
	s_mov_b32 s17, s16
	s_mov_b32 s18, s16
	;; [unrolled: 1-line block ×3, first 2 shown]
	s_nop 0
	global_store_dwordx4 v40, v[9:12], s[10:11]
	v_addc_co_u32_e32 v16, vcc, 0, v3, vcc
	v_mov_b32_e32 v9, s16
	v_mov_b32_e32 v10, s17
	v_mov_b32_e32 v11, s18
	v_mov_b32_e32 v12, s19
	global_store_dwordx4 v40, v[9:12], s[10:11] offset:16
	global_store_dwordx4 v40, v[9:12], s[10:11] offset:32
	global_store_dwordx4 v40, v[9:12], s[10:11] offset:48
	s_and_saveexec_b64 s[10:11], s[4:5]
	s_cbranch_execz .LBB7_22
; %bb.15:
	v_mov_b32_e32 v11, 0
	global_load_dwordx2 v[19:20], v11, s[48:49] offset:32 glc
	global_load_dwordx2 v[2:3], v11, s[48:49] offset:40
	v_mov_b32_e32 v17, s6
	v_mov_b32_e32 v18, s7
	s_waitcnt vmcnt(0)
	v_and_b32_e32 v2, s6, v2
	v_and_b32_e32 v3, s7, v3
	v_mul_lo_u32 v3, v3, 24
	v_mul_hi_u32 v9, v2, 24
	v_mul_lo_u32 v2, v2, 24
	v_add_u32_e32 v3, v9, v3
	v_add_co_u32_e32 v9, vcc, v0, v2
	v_addc_co_u32_e32 v10, vcc, v1, v3, vcc
	global_store_dwordx2 v[9:10], v[19:20], off
	s_waitcnt vmcnt(0)
	global_atomic_cmpswap_x2 v[2:3], v11, v[17:20], s[48:49] offset:32 glc
	s_waitcnt vmcnt(0)
	v_cmp_ne_u64_e32 vcc, v[2:3], v[19:20]
	s_and_saveexec_b64 s[16:17], vcc
	s_cbranch_execz .LBB7_18
; %bb.16:
	s_mov_b64 s[18:19], 0
.LBB7_17:                               ; =>This Inner Loop Header: Depth=1
	s_sleep 1
	global_store_dwordx2 v[9:10], v[2:3], off
	v_mov_b32_e32 v0, s6
	v_mov_b32_e32 v1, s7
	s_waitcnt vmcnt(0)
	global_atomic_cmpswap_x2 v[0:1], v11, v[0:3], s[48:49] offset:32 glc
	s_waitcnt vmcnt(0)
	v_cmp_eq_u64_e32 vcc, v[0:1], v[2:3]
	v_mov_b32_e32 v3, v1
	s_or_b64 s[18:19], vcc, s[18:19]
	v_mov_b32_e32 v2, v0
	s_andn2_b64 exec, exec, s[18:19]
	s_cbranch_execnz .LBB7_17
.LBB7_18:
	s_or_b64 exec, exec, s[16:17]
	v_mov_b32_e32 v3, 0
	global_load_dwordx2 v[0:1], v3, s[48:49] offset:16
	s_mov_b64 s[16:17], exec
	v_mbcnt_lo_u32_b32 v2, s16, 0
	v_mbcnt_hi_u32_b32 v2, s17, v2
	v_cmp_eq_u32_e32 vcc, 0, v2
	s_and_saveexec_b64 s[18:19], vcc
	s_cbranch_execz .LBB7_20
; %bb.19:
	s_bcnt1_i32_b64 s15, s[16:17]
	v_mov_b32_e32 v2, s15
	s_waitcnt vmcnt(0)
	global_atomic_add_x2 v[0:1], v[2:3], off offset:8
.LBB7_20:
	s_or_b64 exec, exec, s[18:19]
	s_waitcnt vmcnt(0)
	global_load_dwordx2 v[2:3], v[0:1], off offset:16
	s_waitcnt vmcnt(0)
	v_cmp_eq_u64_e32 vcc, 0, v[2:3]
	s_cbranch_vccnz .LBB7_22
; %bb.21:
	global_load_dword v0, v[0:1], off offset:24
	v_mov_b32_e32 v1, 0
	s_waitcnt vmcnt(0)
	global_store_dwordx2 v[2:3], v[0:1], off
	v_and_b32_e32 v0, 0xffffff, v0
	v_readfirstlane_b32 m0, v0
	s_sendmsg sendmsg(MSG_INTERRUPT)
.LBB7_22:
	s_or_b64 exec, exec, s[10:11]
	s_branch .LBB7_26
.LBB7_23:                               ;   in Loop: Header=BB7_26 Depth=1
	s_or_b64 exec, exec, s[10:11]
	v_readfirstlane_b32 s10, v0
	s_cmp_eq_u32 s10, 0
	s_cbranch_scc1 .LBB7_25
; %bb.24:                               ;   in Loop: Header=BB7_26 Depth=1
	s_sleep 1
	s_cbranch_execnz .LBB7_26
	s_branch .LBB7_28
.LBB7_25:
	s_branch .LBB7_28
.LBB7_26:                               ; =>This Inner Loop Header: Depth=1
	v_mov_b32_e32 v0, 1
	s_and_saveexec_b64 s[10:11], s[4:5]
	s_cbranch_execz .LBB7_23
; %bb.27:                               ;   in Loop: Header=BB7_26 Depth=1
	global_load_dword v0, v[13:14], off offset:20 glc
	s_waitcnt vmcnt(0)
	buffer_wbinvl1_vol
	v_and_b32_e32 v0, 1, v0
	s_branch .LBB7_23
.LBB7_28:
	global_load_dwordx2 v[9:10], v[15:16], off
	s_and_saveexec_b64 s[10:11], s[4:5]
	s_cbranch_execz .LBB7_31
; %bb.29:
	v_mov_b32_e32 v13, 0
	global_load_dwordx2 v[2:3], v13, s[48:49] offset:40
	global_load_dwordx2 v[14:15], v13, s[48:49] offset:24 glc
	global_load_dwordx2 v[11:12], v13, s[48:49]
	v_mov_b32_e32 v1, s7
	s_mov_b64 s[4:5], 0
	s_waitcnt vmcnt(2)
	v_add_co_u32_e32 v16, vcc, 1, v2
	v_addc_co_u32_e32 v17, vcc, 0, v3, vcc
	v_add_co_u32_e32 v0, vcc, s6, v16
	v_addc_co_u32_e32 v1, vcc, v17, v1, vcc
	v_cmp_eq_u64_e32 vcc, 0, v[0:1]
	v_cndmask_b32_e32 v1, v1, v17, vcc
	v_cndmask_b32_e32 v0, v0, v16, vcc
	v_and_b32_e32 v3, v1, v3
	v_and_b32_e32 v2, v0, v2
	v_mul_lo_u32 v3, v3, 24
	v_mul_hi_u32 v16, v2, 24
	v_mul_lo_u32 v17, v2, 24
	s_waitcnt vmcnt(1)
	v_mov_b32_e32 v2, v14
	v_add_u32_e32 v3, v16, v3
	s_waitcnt vmcnt(0)
	v_add_co_u32_e32 v11, vcc, v11, v17
	v_addc_co_u32_e32 v12, vcc, v12, v3, vcc
	global_store_dwordx2 v[11:12], v[14:15], off
	v_mov_b32_e32 v3, v15
	s_waitcnt vmcnt(0)
	global_atomic_cmpswap_x2 v[2:3], v13, v[0:3], s[48:49] offset:24 glc
	s_waitcnt vmcnt(0)
	v_cmp_ne_u64_e32 vcc, v[2:3], v[14:15]
	s_and_b64 exec, exec, vcc
	s_cbranch_execz .LBB7_31
.LBB7_30:                               ; =>This Inner Loop Header: Depth=1
	s_sleep 1
	global_store_dwordx2 v[11:12], v[2:3], off
	s_waitcnt vmcnt(0)
	global_atomic_cmpswap_x2 v[14:15], v13, v[0:3], s[48:49] offset:24 glc
	s_waitcnt vmcnt(0)
	v_cmp_eq_u64_e32 vcc, v[14:15], v[2:3]
	v_mov_b32_e32 v2, v14
	s_or_b64 s[4:5], vcc, s[4:5]
	v_mov_b32_e32 v3, v15
	s_andn2_b64 exec, exec, s[4:5]
	s_cbranch_execnz .LBB7_30
.LBB7_31:
	s_or_b64 exec, exec, s[10:11]
	s_getpc_b64 s[10:11]
	s_add_u32 s10, s10, .str.5@rel32@lo+4
	s_addc_u32 s11, s11, .str.5@rel32@hi+12
	s_cmp_lg_u64 s[10:11], 0
	s_cselect_b64 s[6:7], -1, 0
	s_and_b64 vcc, exec, s[6:7]
	s_cbranch_vccz .LBB7_116
; %bb.32:
	s_waitcnt vmcnt(0)
	v_and_b32_e32 v34, 2, v9
	v_mov_b32_e32 v31, 0
	v_and_b32_e32 v0, -3, v9
	v_mov_b32_e32 v1, v10
	s_mov_b64 s[16:17], 3
	v_mov_b32_e32 v13, 2
	v_mov_b32_e32 v14, 1
	s_branch .LBB7_34
.LBB7_33:                               ;   in Loop: Header=BB7_34 Depth=1
	s_or_b64 exec, exec, s[22:23]
	s_sub_u32 s16, s16, s18
	s_subb_u32 s17, s17, s19
	s_add_u32 s10, s10, s18
	s_addc_u32 s11, s11, s19
	s_cmp_lg_u64 s[16:17], 0
	s_cbranch_scc0 .LBB7_115
.LBB7_34:                               ; =>This Loop Header: Depth=1
                                        ;     Child Loop BB7_37 Depth 2
                                        ;     Child Loop BB7_44 Depth 2
	;; [unrolled: 1-line block ×11, first 2 shown]
	v_cmp_lt_u64_e64 s[4:5], s[16:17], 56
	v_cmp_gt_u64_e64 s[20:21], s[16:17], 7
	s_and_b64 s[4:5], s[4:5], exec
	s_cselect_b32 s19, s17, 0
	s_cselect_b32 s18, s16, 56
	s_and_b64 vcc, exec, s[20:21]
	s_cbranch_vccnz .LBB7_39
; %bb.35:                               ;   in Loop: Header=BB7_34 Depth=1
	s_waitcnt vmcnt(0)
	v_mov_b32_e32 v2, 0
	s_cmp_eq_u64 s[16:17], 0
	v_mov_b32_e32 v3, 0
	s_mov_b64 s[4:5], 0
	s_cbranch_scc1 .LBB7_38
; %bb.36:                               ;   in Loop: Header=BB7_34 Depth=1
	v_mov_b32_e32 v2, 0
	s_lshl_b64 s[20:21], s[18:19], 3
	s_mov_b64 s[22:23], 0
	v_mov_b32_e32 v3, 0
	s_mov_b64 s[24:25], s[10:11]
.LBB7_37:                               ;   Parent Loop BB7_34 Depth=1
                                        ; =>  This Inner Loop Header: Depth=2
	global_load_ubyte v11, v31, s[24:25]
	s_waitcnt vmcnt(0)
	v_and_b32_e32 v30, 0xffff, v11
	v_lshlrev_b64 v[11:12], s22, v[30:31]
	s_add_u32 s22, s22, 8
	s_addc_u32 s23, s23, 0
	s_add_u32 s24, s24, 1
	s_addc_u32 s25, s25, 0
	v_or_b32_e32 v2, v11, v2
	s_cmp_lg_u32 s20, s22
	v_or_b32_e32 v3, v12, v3
	s_cbranch_scc1 .LBB7_37
.LBB7_38:                               ;   in Loop: Header=BB7_34 Depth=1
	s_mov_b32 s15, 0
	s_andn2_b64 vcc, exec, s[4:5]
	s_mov_b64 s[4:5], s[10:11]
	s_cbranch_vccz .LBB7_40
	s_branch .LBB7_41
.LBB7_39:                               ;   in Loop: Header=BB7_34 Depth=1
                                        ; implicit-def: $vgpr2_vgpr3
                                        ; implicit-def: $sgpr15
	s_mov_b64 s[4:5], s[10:11]
.LBB7_40:                               ;   in Loop: Header=BB7_34 Depth=1
	global_load_dwordx2 v[2:3], v31, s[10:11]
	s_add_i32 s15, s18, -8
	s_add_u32 s4, s10, 8
	s_addc_u32 s5, s11, 0
.LBB7_41:                               ;   in Loop: Header=BB7_34 Depth=1
	s_cmp_gt_u32 s15, 7
	s_cbranch_scc1 .LBB7_45
; %bb.42:                               ;   in Loop: Header=BB7_34 Depth=1
	s_cmp_eq_u32 s15, 0
	s_cbranch_scc1 .LBB7_46
; %bb.43:                               ;   in Loop: Header=BB7_34 Depth=1
	v_mov_b32_e32 v15, 0
	s_mov_b64 s[20:21], 0
	v_mov_b32_e32 v16, 0
	s_mov_b64 s[22:23], 0
.LBB7_44:                               ;   Parent Loop BB7_34 Depth=1
                                        ; =>  This Inner Loop Header: Depth=2
	s_add_u32 s24, s4, s22
	s_addc_u32 s25, s5, s23
	global_load_ubyte v11, v31, s[24:25]
	s_add_u32 s22, s22, 1
	s_addc_u32 s23, s23, 0
	s_waitcnt vmcnt(0)
	v_and_b32_e32 v30, 0xffff, v11
	v_lshlrev_b64 v[11:12], s20, v[30:31]
	s_add_u32 s20, s20, 8
	s_addc_u32 s21, s21, 0
	v_or_b32_e32 v15, v11, v15
	s_cmp_lg_u32 s15, s22
	v_or_b32_e32 v16, v12, v16
	s_cbranch_scc1 .LBB7_44
	s_branch .LBB7_47
.LBB7_45:                               ;   in Loop: Header=BB7_34 Depth=1
                                        ; implicit-def: $vgpr15_vgpr16
                                        ; implicit-def: $sgpr24
	s_branch .LBB7_48
.LBB7_46:                               ;   in Loop: Header=BB7_34 Depth=1
	v_mov_b32_e32 v15, 0
	v_mov_b32_e32 v16, 0
.LBB7_47:                               ;   in Loop: Header=BB7_34 Depth=1
	s_mov_b32 s24, 0
	s_cbranch_execnz .LBB7_49
.LBB7_48:                               ;   in Loop: Header=BB7_34 Depth=1
	global_load_dwordx2 v[15:16], v31, s[4:5]
	s_add_i32 s24, s15, -8
	s_add_u32 s4, s4, 8
	s_addc_u32 s5, s5, 0
.LBB7_49:                               ;   in Loop: Header=BB7_34 Depth=1
	s_cmp_gt_u32 s24, 7
	s_cbranch_scc1 .LBB7_53
; %bb.50:                               ;   in Loop: Header=BB7_34 Depth=1
	s_cmp_eq_u32 s24, 0
	s_cbranch_scc1 .LBB7_54
; %bb.51:                               ;   in Loop: Header=BB7_34 Depth=1
	v_mov_b32_e32 v17, 0
	s_mov_b64 s[20:21], 0
	v_mov_b32_e32 v18, 0
	s_mov_b64 s[22:23], 0
.LBB7_52:                               ;   Parent Loop BB7_34 Depth=1
                                        ; =>  This Inner Loop Header: Depth=2
	s_add_u32 s26, s4, s22
	s_addc_u32 s27, s5, s23
	global_load_ubyte v11, v31, s[26:27]
	s_add_u32 s22, s22, 1
	s_addc_u32 s23, s23, 0
	s_waitcnt vmcnt(0)
	v_and_b32_e32 v30, 0xffff, v11
	v_lshlrev_b64 v[11:12], s20, v[30:31]
	s_add_u32 s20, s20, 8
	s_addc_u32 s21, s21, 0
	v_or_b32_e32 v17, v11, v17
	s_cmp_lg_u32 s24, s22
	v_or_b32_e32 v18, v12, v18
	s_cbranch_scc1 .LBB7_52
	s_branch .LBB7_55
.LBB7_53:                               ;   in Loop: Header=BB7_34 Depth=1
                                        ; implicit-def: $sgpr15
	s_branch .LBB7_56
.LBB7_54:                               ;   in Loop: Header=BB7_34 Depth=1
	v_mov_b32_e32 v17, 0
	v_mov_b32_e32 v18, 0
.LBB7_55:                               ;   in Loop: Header=BB7_34 Depth=1
	s_mov_b32 s15, 0
	s_cbranch_execnz .LBB7_57
.LBB7_56:                               ;   in Loop: Header=BB7_34 Depth=1
	global_load_dwordx2 v[17:18], v31, s[4:5]
	s_add_i32 s15, s24, -8
	s_add_u32 s4, s4, 8
	s_addc_u32 s5, s5, 0
.LBB7_57:                               ;   in Loop: Header=BB7_34 Depth=1
	s_cmp_gt_u32 s15, 7
	s_cbranch_scc1 .LBB7_61
; %bb.58:                               ;   in Loop: Header=BB7_34 Depth=1
	s_cmp_eq_u32 s15, 0
	s_cbranch_scc1 .LBB7_62
; %bb.59:                               ;   in Loop: Header=BB7_34 Depth=1
	v_mov_b32_e32 v19, 0
	s_mov_b64 s[20:21], 0
	v_mov_b32_e32 v20, 0
	s_mov_b64 s[22:23], 0
.LBB7_60:                               ;   Parent Loop BB7_34 Depth=1
                                        ; =>  This Inner Loop Header: Depth=2
	s_add_u32 s24, s4, s22
	s_addc_u32 s25, s5, s23
	global_load_ubyte v11, v31, s[24:25]
	s_add_u32 s22, s22, 1
	s_addc_u32 s23, s23, 0
	s_waitcnt vmcnt(0)
	v_and_b32_e32 v30, 0xffff, v11
	v_lshlrev_b64 v[11:12], s20, v[30:31]
	s_add_u32 s20, s20, 8
	s_addc_u32 s21, s21, 0
	v_or_b32_e32 v19, v11, v19
	s_cmp_lg_u32 s15, s22
	v_or_b32_e32 v20, v12, v20
	s_cbranch_scc1 .LBB7_60
	s_branch .LBB7_63
.LBB7_61:                               ;   in Loop: Header=BB7_34 Depth=1
                                        ; implicit-def: $vgpr19_vgpr20
                                        ; implicit-def: $sgpr24
	s_branch .LBB7_64
.LBB7_62:                               ;   in Loop: Header=BB7_34 Depth=1
	v_mov_b32_e32 v19, 0
	v_mov_b32_e32 v20, 0
.LBB7_63:                               ;   in Loop: Header=BB7_34 Depth=1
	s_mov_b32 s24, 0
	s_cbranch_execnz .LBB7_65
.LBB7_64:                               ;   in Loop: Header=BB7_34 Depth=1
	global_load_dwordx2 v[19:20], v31, s[4:5]
	s_add_i32 s24, s15, -8
	s_add_u32 s4, s4, 8
	s_addc_u32 s5, s5, 0
.LBB7_65:                               ;   in Loop: Header=BB7_34 Depth=1
	s_cmp_gt_u32 s24, 7
	s_cbranch_scc1 .LBB7_69
; %bb.66:                               ;   in Loop: Header=BB7_34 Depth=1
	s_cmp_eq_u32 s24, 0
	s_cbranch_scc1 .LBB7_70
; %bb.67:                               ;   in Loop: Header=BB7_34 Depth=1
	v_mov_b32_e32 v21, 0
	s_mov_b64 s[20:21], 0
	v_mov_b32_e32 v22, 0
	s_mov_b64 s[22:23], 0
.LBB7_68:                               ;   Parent Loop BB7_34 Depth=1
                                        ; =>  This Inner Loop Header: Depth=2
	s_add_u32 s26, s4, s22
	s_addc_u32 s27, s5, s23
	global_load_ubyte v11, v31, s[26:27]
	s_add_u32 s22, s22, 1
	s_addc_u32 s23, s23, 0
	s_waitcnt vmcnt(0)
	v_and_b32_e32 v30, 0xffff, v11
	v_lshlrev_b64 v[11:12], s20, v[30:31]
	s_add_u32 s20, s20, 8
	s_addc_u32 s21, s21, 0
	v_or_b32_e32 v21, v11, v21
	s_cmp_lg_u32 s24, s22
	v_or_b32_e32 v22, v12, v22
	s_cbranch_scc1 .LBB7_68
	s_branch .LBB7_71
.LBB7_69:                               ;   in Loop: Header=BB7_34 Depth=1
                                        ; implicit-def: $sgpr15
	s_branch .LBB7_72
.LBB7_70:                               ;   in Loop: Header=BB7_34 Depth=1
	v_mov_b32_e32 v21, 0
	v_mov_b32_e32 v22, 0
.LBB7_71:                               ;   in Loop: Header=BB7_34 Depth=1
	s_mov_b32 s15, 0
	s_cbranch_execnz .LBB7_73
.LBB7_72:                               ;   in Loop: Header=BB7_34 Depth=1
	global_load_dwordx2 v[21:22], v31, s[4:5]
	s_add_i32 s15, s24, -8
	s_add_u32 s4, s4, 8
	s_addc_u32 s5, s5, 0
.LBB7_73:                               ;   in Loop: Header=BB7_34 Depth=1
	s_cmp_gt_u32 s15, 7
	s_cbranch_scc1 .LBB7_77
; %bb.74:                               ;   in Loop: Header=BB7_34 Depth=1
	s_cmp_eq_u32 s15, 0
	s_cbranch_scc1 .LBB7_78
; %bb.75:                               ;   in Loop: Header=BB7_34 Depth=1
	v_mov_b32_e32 v23, 0
	s_mov_b64 s[20:21], 0
	v_mov_b32_e32 v24, 0
	s_mov_b64 s[22:23], 0
.LBB7_76:                               ;   Parent Loop BB7_34 Depth=1
                                        ; =>  This Inner Loop Header: Depth=2
	s_add_u32 s24, s4, s22
	s_addc_u32 s25, s5, s23
	global_load_ubyte v11, v31, s[24:25]
	s_add_u32 s22, s22, 1
	s_addc_u32 s23, s23, 0
	s_waitcnt vmcnt(0)
	v_and_b32_e32 v30, 0xffff, v11
	v_lshlrev_b64 v[11:12], s20, v[30:31]
	s_add_u32 s20, s20, 8
	s_addc_u32 s21, s21, 0
	v_or_b32_e32 v23, v11, v23
	s_cmp_lg_u32 s15, s22
	v_or_b32_e32 v24, v12, v24
	s_cbranch_scc1 .LBB7_76
	s_branch .LBB7_79
.LBB7_77:                               ;   in Loop: Header=BB7_34 Depth=1
                                        ; implicit-def: $vgpr23_vgpr24
                                        ; implicit-def: $sgpr24
	s_branch .LBB7_80
.LBB7_78:                               ;   in Loop: Header=BB7_34 Depth=1
	v_mov_b32_e32 v23, 0
	v_mov_b32_e32 v24, 0
.LBB7_79:                               ;   in Loop: Header=BB7_34 Depth=1
	s_mov_b32 s24, 0
	s_cbranch_execnz .LBB7_81
.LBB7_80:                               ;   in Loop: Header=BB7_34 Depth=1
	global_load_dwordx2 v[23:24], v31, s[4:5]
	s_add_i32 s24, s15, -8
	s_add_u32 s4, s4, 8
	s_addc_u32 s5, s5, 0
.LBB7_81:                               ;   in Loop: Header=BB7_34 Depth=1
	s_cmp_gt_u32 s24, 7
	s_cbranch_scc1 .LBB7_85
; %bb.82:                               ;   in Loop: Header=BB7_34 Depth=1
	s_cmp_eq_u32 s24, 0
	s_cbranch_scc1 .LBB7_86
; %bb.83:                               ;   in Loop: Header=BB7_34 Depth=1
	v_mov_b32_e32 v25, 0
	s_mov_b64 s[20:21], 0
	v_mov_b32_e32 v26, 0
	s_mov_b64 s[22:23], s[4:5]
.LBB7_84:                               ;   Parent Loop BB7_34 Depth=1
                                        ; =>  This Inner Loop Header: Depth=2
	global_load_ubyte v11, v31, s[22:23]
	s_add_i32 s24, s24, -1
	s_waitcnt vmcnt(0)
	v_and_b32_e32 v30, 0xffff, v11
	v_lshlrev_b64 v[11:12], s20, v[30:31]
	s_add_u32 s20, s20, 8
	s_addc_u32 s21, s21, 0
	s_add_u32 s22, s22, 1
	s_addc_u32 s23, s23, 0
	v_or_b32_e32 v25, v11, v25
	s_cmp_lg_u32 s24, 0
	v_or_b32_e32 v26, v12, v26
	s_cbranch_scc1 .LBB7_84
	s_branch .LBB7_87
.LBB7_85:                               ;   in Loop: Header=BB7_34 Depth=1
	s_branch .LBB7_88
.LBB7_86:                               ;   in Loop: Header=BB7_34 Depth=1
	v_mov_b32_e32 v25, 0
	v_mov_b32_e32 v26, 0
.LBB7_87:                               ;   in Loop: Header=BB7_34 Depth=1
	s_cbranch_execnz .LBB7_89
.LBB7_88:                               ;   in Loop: Header=BB7_34 Depth=1
	global_load_dwordx2 v[25:26], v31, s[4:5]
.LBB7_89:                               ;   in Loop: Header=BB7_34 Depth=1
	v_readfirstlane_b32 s4, v44
	v_mov_b32_e32 v11, 0
	v_mov_b32_e32 v12, 0
	v_cmp_eq_u32_e64 s[4:5], s4, v44
	s_and_saveexec_b64 s[20:21], s[4:5]
	s_cbranch_execz .LBB7_95
; %bb.90:                               ;   in Loop: Header=BB7_34 Depth=1
	global_load_dwordx2 v[29:30], v31, s[48:49] offset:24 glc
	s_waitcnt vmcnt(0)
	buffer_wbinvl1_vol
	global_load_dwordx2 v[11:12], v31, s[48:49] offset:40
	global_load_dwordx2 v[27:28], v31, s[48:49]
	s_waitcnt vmcnt(1)
	v_and_b32_e32 v11, v11, v29
	v_and_b32_e32 v12, v12, v30
	v_mul_lo_u32 v12, v12, 24
	v_mul_hi_u32 v32, v11, 24
	v_mul_lo_u32 v11, v11, 24
	v_add_u32_e32 v12, v32, v12
	s_waitcnt vmcnt(0)
	v_add_co_u32_e32 v11, vcc, v27, v11
	v_addc_co_u32_e32 v12, vcc, v28, v12, vcc
	global_load_dwordx2 v[27:28], v[11:12], off glc
	s_waitcnt vmcnt(0)
	global_atomic_cmpswap_x2 v[11:12], v31, v[27:30], s[48:49] offset:24 glc
	s_waitcnt vmcnt(0)
	buffer_wbinvl1_vol
	v_cmp_ne_u64_e32 vcc, v[11:12], v[29:30]
	s_and_saveexec_b64 s[22:23], vcc
	s_cbranch_execz .LBB7_94
; %bb.91:                               ;   in Loop: Header=BB7_34 Depth=1
	s_mov_b64 s[24:25], 0
.LBB7_92:                               ;   Parent Loop BB7_34 Depth=1
                                        ; =>  This Inner Loop Header: Depth=2
	s_sleep 1
	global_load_dwordx2 v[27:28], v31, s[48:49] offset:40
	global_load_dwordx2 v[32:33], v31, s[48:49]
	v_mov_b32_e32 v30, v12
	v_mov_b32_e32 v29, v11
	s_waitcnt vmcnt(1)
	v_and_b32_e32 v11, v27, v29
	s_waitcnt vmcnt(0)
	v_mad_u64_u32 v[11:12], s[26:27], v11, 24, v[32:33]
	v_and_b32_e32 v27, v28, v30
	v_mad_u64_u32 v[27:28], s[26:27], v27, 24, v[12:13]
	v_mov_b32_e32 v12, v27
	global_load_dwordx2 v[27:28], v[11:12], off glc
	s_waitcnt vmcnt(0)
	global_atomic_cmpswap_x2 v[11:12], v31, v[27:30], s[48:49] offset:24 glc
	s_waitcnt vmcnt(0)
	buffer_wbinvl1_vol
	v_cmp_eq_u64_e32 vcc, v[11:12], v[29:30]
	s_or_b64 s[24:25], vcc, s[24:25]
	s_andn2_b64 exec, exec, s[24:25]
	s_cbranch_execnz .LBB7_92
; %bb.93:                               ;   in Loop: Header=BB7_34 Depth=1
	s_or_b64 exec, exec, s[24:25]
.LBB7_94:                               ;   in Loop: Header=BB7_34 Depth=1
	s_or_b64 exec, exec, s[22:23]
.LBB7_95:                               ;   in Loop: Header=BB7_34 Depth=1
	s_or_b64 exec, exec, s[20:21]
	global_load_dwordx2 v[32:33], v31, s[48:49] offset:40
	global_load_dwordx4 v[27:30], v31, s[48:49]
	v_readfirstlane_b32 s20, v11
	v_readfirstlane_b32 s21, v12
	s_mov_b64 s[22:23], exec
	s_waitcnt vmcnt(1)
	v_readfirstlane_b32 s24, v32
	v_readfirstlane_b32 s25, v33
	s_and_b64 s[24:25], s[20:21], s[24:25]
	s_mul_i32 s15, s25, 24
	s_mul_hi_u32 s26, s24, 24
	s_mul_i32 s27, s24, 24
	s_add_i32 s15, s26, s15
	v_mov_b32_e32 v11, s15
	s_waitcnt vmcnt(0)
	v_add_co_u32_e32 v32, vcc, s27, v27
	v_addc_co_u32_e32 v33, vcc, v28, v11, vcc
	s_and_saveexec_b64 s[26:27], s[4:5]
	s_cbranch_execz .LBB7_97
; %bb.96:                               ;   in Loop: Header=BB7_34 Depth=1
	v_mov_b32_e32 v11, s22
	v_mov_b32_e32 v12, s23
	global_store_dwordx4 v[32:33], v[11:14], off offset:8
.LBB7_97:                               ;   in Loop: Header=BB7_34 Depth=1
	s_or_b64 exec, exec, s[26:27]
	s_lshl_b64 s[22:23], s[24:25], 12
	v_mov_b32_e32 v11, s23
	v_add_co_u32_e32 v29, vcc, s22, v29
	v_addc_co_u32_e32 v35, vcc, v30, v11, vcc
	v_cmp_gt_u64_e64 vcc, s[16:17], 56
	v_or_b32_e32 v12, v0, v34
	s_lshl_b32 s15, s18, 2
	v_cndmask_b32_e32 v0, v12, v0, vcc
	s_add_i32 s15, s15, 28
	v_or_b32_e32 v11, 0, v1
	s_and_b32 s15, s15, 0x1e0
	v_and_b32_e32 v0, 0xffffff1f, v0
	v_cndmask_b32_e32 v1, v11, v1, vcc
	v_or_b32_e32 v0, s15, v0
	v_readfirstlane_b32 s22, v29
	v_readfirstlane_b32 s23, v35
	s_nop 4
	global_store_dwordx4 v40, v[0:3], s[22:23]
	global_store_dwordx4 v40, v[15:18], s[22:23] offset:16
	global_store_dwordx4 v40, v[19:22], s[22:23] offset:32
	;; [unrolled: 1-line block ×3, first 2 shown]
	s_and_saveexec_b64 s[22:23], s[4:5]
	s_cbranch_execz .LBB7_105
; %bb.98:                               ;   in Loop: Header=BB7_34 Depth=1
	global_load_dwordx2 v[17:18], v31, s[48:49] offset:32 glc
	global_load_dwordx2 v[0:1], v31, s[48:49] offset:40
	v_mov_b32_e32 v15, s20
	v_mov_b32_e32 v16, s21
	s_waitcnt vmcnt(0)
	v_readfirstlane_b32 s24, v0
	v_readfirstlane_b32 s25, v1
	s_and_b64 s[24:25], s[24:25], s[20:21]
	s_mul_i32 s15, s25, 24
	s_mul_hi_u32 s25, s24, 24
	s_mul_i32 s24, s24, 24
	s_add_i32 s15, s25, s15
	v_mov_b32_e32 v0, s15
	v_add_co_u32_e32 v11, vcc, s24, v27
	v_addc_co_u32_e32 v12, vcc, v28, v0, vcc
	global_store_dwordx2 v[11:12], v[17:18], off
	s_waitcnt vmcnt(0)
	global_atomic_cmpswap_x2 v[2:3], v31, v[15:18], s[48:49] offset:32 glc
	s_waitcnt vmcnt(0)
	v_cmp_ne_u64_e32 vcc, v[2:3], v[17:18]
	s_and_saveexec_b64 s[24:25], vcc
	s_cbranch_execz .LBB7_101
; %bb.99:                               ;   in Loop: Header=BB7_34 Depth=1
	s_mov_b64 s[26:27], 0
.LBB7_100:                              ;   Parent Loop BB7_34 Depth=1
                                        ; =>  This Inner Loop Header: Depth=2
	s_sleep 1
	global_store_dwordx2 v[11:12], v[2:3], off
	v_mov_b32_e32 v0, s20
	v_mov_b32_e32 v1, s21
	s_waitcnt vmcnt(0)
	global_atomic_cmpswap_x2 v[0:1], v31, v[0:3], s[48:49] offset:32 glc
	s_waitcnt vmcnt(0)
	v_cmp_eq_u64_e32 vcc, v[0:1], v[2:3]
	v_mov_b32_e32 v3, v1
	s_or_b64 s[26:27], vcc, s[26:27]
	v_mov_b32_e32 v2, v0
	s_andn2_b64 exec, exec, s[26:27]
	s_cbranch_execnz .LBB7_100
.LBB7_101:                              ;   in Loop: Header=BB7_34 Depth=1
	s_or_b64 exec, exec, s[24:25]
	global_load_dwordx2 v[0:1], v31, s[48:49] offset:16
	s_mov_b64 s[26:27], exec
	v_mbcnt_lo_u32_b32 v2, s26, 0
	v_mbcnt_hi_u32_b32 v2, s27, v2
	v_cmp_eq_u32_e32 vcc, 0, v2
	s_and_saveexec_b64 s[24:25], vcc
	s_cbranch_execz .LBB7_103
; %bb.102:                              ;   in Loop: Header=BB7_34 Depth=1
	s_bcnt1_i32_b64 s15, s[26:27]
	v_mov_b32_e32 v30, s15
	s_waitcnt vmcnt(0)
	global_atomic_add_x2 v[0:1], v[30:31], off offset:8
.LBB7_103:                              ;   in Loop: Header=BB7_34 Depth=1
	s_or_b64 exec, exec, s[24:25]
	s_waitcnt vmcnt(0)
	global_load_dwordx2 v[2:3], v[0:1], off offset:16
	s_waitcnt vmcnt(0)
	v_cmp_eq_u64_e32 vcc, 0, v[2:3]
	s_cbranch_vccnz .LBB7_105
; %bb.104:                              ;   in Loop: Header=BB7_34 Depth=1
	global_load_dword v30, v[0:1], off offset:24
	s_waitcnt vmcnt(0)
	v_and_b32_e32 v0, 0xffffff, v30
	v_readfirstlane_b32 m0, v0
	global_store_dwordx2 v[2:3], v[30:31], off
	s_sendmsg sendmsg(MSG_INTERRUPT)
.LBB7_105:                              ;   in Loop: Header=BB7_34 Depth=1
	s_or_b64 exec, exec, s[22:23]
	v_add_co_u32_e32 v0, vcc, v29, v40
	v_addc_co_u32_e32 v1, vcc, 0, v35, vcc
	s_branch .LBB7_109
.LBB7_106:                              ;   in Loop: Header=BB7_109 Depth=2
	s_or_b64 exec, exec, s[22:23]
	v_readfirstlane_b32 s15, v2
	s_cmp_eq_u32 s15, 0
	s_cbranch_scc1 .LBB7_108
; %bb.107:                              ;   in Loop: Header=BB7_109 Depth=2
	s_sleep 1
	s_cbranch_execnz .LBB7_109
	s_branch .LBB7_111
.LBB7_108:                              ;   in Loop: Header=BB7_34 Depth=1
	s_branch .LBB7_111
.LBB7_109:                              ;   Parent Loop BB7_34 Depth=1
                                        ; =>  This Inner Loop Header: Depth=2
	v_mov_b32_e32 v2, 1
	s_and_saveexec_b64 s[22:23], s[4:5]
	s_cbranch_execz .LBB7_106
; %bb.110:                              ;   in Loop: Header=BB7_109 Depth=2
	global_load_dword v2, v[32:33], off offset:20 glc
	s_waitcnt vmcnt(0)
	buffer_wbinvl1_vol
	v_and_b32_e32 v2, 1, v2
	s_branch .LBB7_106
.LBB7_111:                              ;   in Loop: Header=BB7_34 Depth=1
	global_load_dwordx4 v[0:3], v[0:1], off
	s_and_saveexec_b64 s[22:23], s[4:5]
	s_cbranch_execz .LBB7_33
; %bb.112:                              ;   in Loop: Header=BB7_34 Depth=1
	global_load_dwordx2 v[2:3], v31, s[48:49] offset:40
	global_load_dwordx2 v[11:12], v31, s[48:49] offset:24 glc
	global_load_dwordx2 v[18:19], v31, s[48:49]
	v_mov_b32_e32 v16, s21
	s_waitcnt vmcnt(2)
	v_add_co_u32_e32 v17, vcc, 1, v2
	v_addc_co_u32_e32 v20, vcc, 0, v3, vcc
	v_add_co_u32_e32 v15, vcc, s20, v17
	v_addc_co_u32_e32 v16, vcc, v20, v16, vcc
	v_cmp_eq_u64_e32 vcc, 0, v[15:16]
	v_cndmask_b32_e32 v16, v16, v20, vcc
	v_cndmask_b32_e32 v15, v15, v17, vcc
	v_and_b32_e32 v3, v16, v3
	v_and_b32_e32 v2, v15, v2
	v_mul_lo_u32 v3, v3, 24
	v_mul_hi_u32 v20, v2, 24
	v_mul_lo_u32 v2, v2, 24
	s_waitcnt vmcnt(1)
	v_mov_b32_e32 v17, v11
	v_add_u32_e32 v3, v20, v3
	s_waitcnt vmcnt(0)
	v_add_co_u32_e32 v2, vcc, v18, v2
	v_addc_co_u32_e32 v3, vcc, v19, v3, vcc
	global_store_dwordx2 v[2:3], v[11:12], off
	v_mov_b32_e32 v18, v12
	s_waitcnt vmcnt(0)
	global_atomic_cmpswap_x2 v[17:18], v31, v[15:18], s[48:49] offset:24 glc
	s_waitcnt vmcnt(0)
	v_cmp_ne_u64_e32 vcc, v[17:18], v[11:12]
	s_and_b64 exec, exec, vcc
	s_cbranch_execz .LBB7_33
; %bb.113:                              ;   in Loop: Header=BB7_34 Depth=1
	s_mov_b64 s[4:5], 0
.LBB7_114:                              ;   Parent Loop BB7_34 Depth=1
                                        ; =>  This Inner Loop Header: Depth=2
	s_sleep 1
	global_store_dwordx2 v[2:3], v[17:18], off
	s_waitcnt vmcnt(0)
	global_atomic_cmpswap_x2 v[11:12], v31, v[15:18], s[48:49] offset:24 glc
	s_waitcnt vmcnt(0)
	v_cmp_eq_u64_e32 vcc, v[11:12], v[17:18]
	v_mov_b32_e32 v18, v12
	s_or_b64 s[4:5], vcc, s[4:5]
	v_mov_b32_e32 v17, v11
	s_andn2_b64 exec, exec, s[4:5]
	s_cbranch_execnz .LBB7_114
	s_branch .LBB7_33
.LBB7_115:
	s_branch .LBB7_143
.LBB7_116:
                                        ; implicit-def: $vgpr0_vgpr1
	s_cbranch_execz .LBB7_143
; %bb.117:
	v_readfirstlane_b32 s4, v44
	v_mov_b32_e32 v12, 0
	v_mov_b32_e32 v13, 0
	v_cmp_eq_u32_e64 s[4:5], s4, v44
	s_and_saveexec_b64 s[10:11], s[4:5]
	s_cbranch_execz .LBB7_123
; %bb.118:
	s_waitcnt vmcnt(0)
	v_mov_b32_e32 v0, 0
	global_load_dwordx2 v[14:15], v0, s[48:49] offset:24 glc
	s_waitcnt vmcnt(0)
	buffer_wbinvl1_vol
	global_load_dwordx2 v[1:2], v0, s[48:49] offset:40
	global_load_dwordx2 v[11:12], v0, s[48:49]
	s_waitcnt vmcnt(1)
	v_and_b32_e32 v1, v1, v14
	v_and_b32_e32 v2, v2, v15
	v_mul_lo_u32 v2, v2, 24
	v_mul_hi_u32 v3, v1, 24
	v_mul_lo_u32 v1, v1, 24
	v_add_u32_e32 v2, v3, v2
	s_waitcnt vmcnt(0)
	v_add_co_u32_e32 v1, vcc, v11, v1
	v_addc_co_u32_e32 v2, vcc, v12, v2, vcc
	global_load_dwordx2 v[12:13], v[1:2], off glc
	s_waitcnt vmcnt(0)
	global_atomic_cmpswap_x2 v[12:13], v0, v[12:15], s[48:49] offset:24 glc
	s_waitcnt vmcnt(0)
	buffer_wbinvl1_vol
	v_cmp_ne_u64_e32 vcc, v[12:13], v[14:15]
	s_and_saveexec_b64 s[16:17], vcc
	s_cbranch_execz .LBB7_122
; %bb.119:
	s_mov_b64 s[18:19], 0
.LBB7_120:                              ; =>This Inner Loop Header: Depth=1
	s_sleep 1
	global_load_dwordx2 v[1:2], v0, s[48:49] offset:40
	global_load_dwordx2 v[16:17], v0, s[48:49]
	v_mov_b32_e32 v15, v13
	v_mov_b32_e32 v14, v12
	s_waitcnt vmcnt(1)
	v_and_b32_e32 v1, v1, v14
	s_waitcnt vmcnt(0)
	v_mad_u64_u32 v[11:12], s[20:21], v1, 24, v[16:17]
	v_and_b32_e32 v2, v2, v15
	v_mov_b32_e32 v1, v12
	v_mad_u64_u32 v[1:2], s[20:21], v2, 24, v[1:2]
	v_mov_b32_e32 v12, v1
	global_load_dwordx2 v[12:13], v[11:12], off glc
	s_waitcnt vmcnt(0)
	global_atomic_cmpswap_x2 v[12:13], v0, v[12:15], s[48:49] offset:24 glc
	s_waitcnt vmcnt(0)
	buffer_wbinvl1_vol
	v_cmp_eq_u64_e32 vcc, v[12:13], v[14:15]
	s_or_b64 s[18:19], vcc, s[18:19]
	s_andn2_b64 exec, exec, s[18:19]
	s_cbranch_execnz .LBB7_120
; %bb.121:
	s_or_b64 exec, exec, s[18:19]
.LBB7_122:
	s_or_b64 exec, exec, s[16:17]
.LBB7_123:
	s_or_b64 exec, exec, s[10:11]
	v_mov_b32_e32 v11, 0
	global_load_dwordx2 v[14:15], v11, s[48:49] offset:40
	global_load_dwordx4 v[0:3], v11, s[48:49]
	v_readfirstlane_b32 s10, v12
	v_readfirstlane_b32 s11, v13
	s_mov_b64 s[16:17], exec
	s_waitcnt vmcnt(1)
	v_readfirstlane_b32 s18, v14
	v_readfirstlane_b32 s19, v15
	s_and_b64 s[18:19], s[10:11], s[18:19]
	s_mul_i32 s15, s19, 24
	s_mul_hi_u32 s20, s18, 24
	s_mul_i32 s21, s18, 24
	s_add_i32 s15, s20, s15
	v_mov_b32_e32 v12, s15
	s_waitcnt vmcnt(0)
	v_add_co_u32_e32 v13, vcc, s21, v0
	v_addc_co_u32_e32 v14, vcc, v1, v12, vcc
	s_and_saveexec_b64 s[20:21], s[4:5]
	s_cbranch_execz .LBB7_125
; %bb.124:
	v_mov_b32_e32 v15, s16
	v_mov_b32_e32 v16, s17
	;; [unrolled: 1-line block ×4, first 2 shown]
	global_store_dwordx4 v[13:14], v[15:18], off offset:8
.LBB7_125:
	s_or_b64 exec, exec, s[20:21]
	s_lshl_b64 s[16:17], s[18:19], 12
	v_mov_b32_e32 v12, s17
	v_add_co_u32_e32 v2, vcc, s16, v2
	v_addc_co_u32_e32 v3, vcc, v3, v12, vcc
	s_movk_i32 s15, 0xff1f
	v_and_or_b32 v9, v9, s15, 32
	s_mov_b32 s16, 0
	v_mov_b32_e32 v12, v11
	v_readfirstlane_b32 s20, v2
	v_readfirstlane_b32 s21, v3
	v_add_co_u32_e32 v15, vcc, v2, v40
	s_mov_b32 s17, s16
	s_mov_b32 s18, s16
	;; [unrolled: 1-line block ×3, first 2 shown]
	s_nop 0
	global_store_dwordx4 v40, v[9:12], s[20:21]
	v_addc_co_u32_e32 v16, vcc, 0, v3, vcc
	v_mov_b32_e32 v9, s16
	v_mov_b32_e32 v10, s17
	;; [unrolled: 1-line block ×4, first 2 shown]
	global_store_dwordx4 v40, v[9:12], s[20:21] offset:16
	global_store_dwordx4 v40, v[9:12], s[20:21] offset:32
	;; [unrolled: 1-line block ×3, first 2 shown]
	s_and_saveexec_b64 s[16:17], s[4:5]
	s_cbranch_execz .LBB7_133
; %bb.126:
	v_mov_b32_e32 v11, 0
	global_load_dwordx2 v[19:20], v11, s[48:49] offset:32 glc
	global_load_dwordx2 v[2:3], v11, s[48:49] offset:40
	v_mov_b32_e32 v17, s10
	v_mov_b32_e32 v18, s11
	s_waitcnt vmcnt(0)
	v_readfirstlane_b32 s18, v2
	v_readfirstlane_b32 s19, v3
	s_and_b64 s[18:19], s[18:19], s[10:11]
	s_mul_i32 s15, s19, 24
	s_mul_hi_u32 s19, s18, 24
	s_mul_i32 s18, s18, 24
	s_add_i32 s15, s19, s15
	v_mov_b32_e32 v2, s15
	v_add_co_u32_e32 v9, vcc, s18, v0
	v_addc_co_u32_e32 v10, vcc, v1, v2, vcc
	global_store_dwordx2 v[9:10], v[19:20], off
	s_waitcnt vmcnt(0)
	global_atomic_cmpswap_x2 v[2:3], v11, v[17:20], s[48:49] offset:32 glc
	s_waitcnt vmcnt(0)
	v_cmp_ne_u64_e32 vcc, v[2:3], v[19:20]
	s_and_saveexec_b64 s[18:19], vcc
	s_cbranch_execz .LBB7_129
; %bb.127:
	s_mov_b64 s[20:21], 0
.LBB7_128:                              ; =>This Inner Loop Header: Depth=1
	s_sleep 1
	global_store_dwordx2 v[9:10], v[2:3], off
	v_mov_b32_e32 v0, s10
	v_mov_b32_e32 v1, s11
	s_waitcnt vmcnt(0)
	global_atomic_cmpswap_x2 v[0:1], v11, v[0:3], s[48:49] offset:32 glc
	s_waitcnt vmcnt(0)
	v_cmp_eq_u64_e32 vcc, v[0:1], v[2:3]
	v_mov_b32_e32 v3, v1
	s_or_b64 s[20:21], vcc, s[20:21]
	v_mov_b32_e32 v2, v0
	s_andn2_b64 exec, exec, s[20:21]
	s_cbranch_execnz .LBB7_128
.LBB7_129:
	s_or_b64 exec, exec, s[18:19]
	v_mov_b32_e32 v3, 0
	global_load_dwordx2 v[0:1], v3, s[48:49] offset:16
	s_mov_b64 s[18:19], exec
	v_mbcnt_lo_u32_b32 v2, s18, 0
	v_mbcnt_hi_u32_b32 v2, s19, v2
	v_cmp_eq_u32_e32 vcc, 0, v2
	s_and_saveexec_b64 s[20:21], vcc
	s_cbranch_execz .LBB7_131
; %bb.130:
	s_bcnt1_i32_b64 s15, s[18:19]
	v_mov_b32_e32 v2, s15
	s_waitcnt vmcnt(0)
	global_atomic_add_x2 v[0:1], v[2:3], off offset:8
.LBB7_131:
	s_or_b64 exec, exec, s[20:21]
	s_waitcnt vmcnt(0)
	global_load_dwordx2 v[2:3], v[0:1], off offset:16
	s_waitcnt vmcnt(0)
	v_cmp_eq_u64_e32 vcc, 0, v[2:3]
	s_cbranch_vccnz .LBB7_133
; %bb.132:
	global_load_dword v0, v[0:1], off offset:24
	v_mov_b32_e32 v1, 0
	s_waitcnt vmcnt(0)
	global_store_dwordx2 v[2:3], v[0:1], off
	v_and_b32_e32 v0, 0xffffff, v0
	v_readfirstlane_b32 m0, v0
	s_sendmsg sendmsg(MSG_INTERRUPT)
.LBB7_133:
	s_or_b64 exec, exec, s[16:17]
	s_branch .LBB7_137
.LBB7_134:                              ;   in Loop: Header=BB7_137 Depth=1
	s_or_b64 exec, exec, s[16:17]
	v_readfirstlane_b32 s15, v0
	s_cmp_eq_u32 s15, 0
	s_cbranch_scc1 .LBB7_136
; %bb.135:                              ;   in Loop: Header=BB7_137 Depth=1
	s_sleep 1
	s_cbranch_execnz .LBB7_137
	s_branch .LBB7_139
.LBB7_136:
	s_branch .LBB7_139
.LBB7_137:                              ; =>This Inner Loop Header: Depth=1
	v_mov_b32_e32 v0, 1
	s_and_saveexec_b64 s[16:17], s[4:5]
	s_cbranch_execz .LBB7_134
; %bb.138:                              ;   in Loop: Header=BB7_137 Depth=1
	global_load_dword v0, v[13:14], off offset:20 glc
	s_waitcnt vmcnt(0)
	buffer_wbinvl1_vol
	v_and_b32_e32 v0, 1, v0
	s_branch .LBB7_134
.LBB7_139:
	global_load_dwordx2 v[0:1], v[15:16], off
	s_and_saveexec_b64 s[16:17], s[4:5]
	s_cbranch_execz .LBB7_142
; %bb.140:
	v_mov_b32_e32 v13, 0
	global_load_dwordx2 v[2:3], v13, s[48:49] offset:40
	global_load_dwordx2 v[14:15], v13, s[48:49] offset:24 glc
	global_load_dwordx2 v[16:17], v13, s[48:49]
	v_mov_b32_e32 v10, s11
	s_mov_b64 s[4:5], 0
	s_waitcnt vmcnt(2)
	v_add_co_u32_e32 v11, vcc, 1, v2
	v_addc_co_u32_e32 v12, vcc, 0, v3, vcc
	v_add_co_u32_e32 v9, vcc, s10, v11
	v_addc_co_u32_e32 v10, vcc, v12, v10, vcc
	v_cmp_eq_u64_e32 vcc, 0, v[9:10]
	v_cndmask_b32_e32 v10, v10, v12, vcc
	v_cndmask_b32_e32 v9, v9, v11, vcc
	v_and_b32_e32 v3, v10, v3
	v_and_b32_e32 v2, v9, v2
	v_mul_lo_u32 v3, v3, 24
	v_mul_hi_u32 v12, v2, 24
	v_mul_lo_u32 v2, v2, 24
	s_waitcnt vmcnt(1)
	v_mov_b32_e32 v11, v14
	v_add_u32_e32 v3, v12, v3
	s_waitcnt vmcnt(0)
	v_add_co_u32_e32 v2, vcc, v16, v2
	v_addc_co_u32_e32 v3, vcc, v17, v3, vcc
	global_store_dwordx2 v[2:3], v[14:15], off
	v_mov_b32_e32 v12, v15
	s_waitcnt vmcnt(0)
	global_atomic_cmpswap_x2 v[11:12], v13, v[9:12], s[48:49] offset:24 glc
	s_waitcnt vmcnt(0)
	v_cmp_ne_u64_e32 vcc, v[11:12], v[14:15]
	s_and_b64 exec, exec, vcc
	s_cbranch_execz .LBB7_142
.LBB7_141:                              ; =>This Inner Loop Header: Depth=1
	s_sleep 1
	global_store_dwordx2 v[2:3], v[11:12], off
	s_waitcnt vmcnt(0)
	global_atomic_cmpswap_x2 v[14:15], v13, v[9:12], s[48:49] offset:24 glc
	s_waitcnt vmcnt(0)
	v_cmp_eq_u64_e32 vcc, v[14:15], v[11:12]
	v_mov_b32_e32 v11, v14
	s_or_b64 s[4:5], vcc, s[4:5]
	v_mov_b32_e32 v12, v15
	s_andn2_b64 exec, exec, s[4:5]
	s_cbranch_execnz .LBB7_141
.LBB7_142:
	s_or_b64 exec, exec, s[16:17]
.LBB7_143:
	v_cmp_ne_u64_e32 vcc, 0, v[6:7]
	v_mov_b32_e32 v29, 0
	v_mov_b32_e32 v30, 0
	s_mov_b64 s[16:17], 0
	s_and_saveexec_b64 s[10:11], vcc
	s_cbranch_execnz .LBB7_146
; %bb.144:
	s_or_b64 exec, exec, s[10:11]
	s_and_saveexec_b64 s[4:5], vcc
	s_xor_b64 s[10:11], exec, s[4:5]
	s_cbranch_execnz .LBB7_149
.LBB7_145:
	s_andn2_saveexec_b64 s[10:11], s[10:11]
	s_cbranch_execnz .LBB7_234
	s_branch .LBB7_260
.LBB7_146:
	s_waitcnt vmcnt(0)
	v_add_co_u32_e64 v2, s[4:5], -1, v6
	v_addc_co_u32_e64 v3, s[4:5], -1, v7, s[4:5]
.LBB7_147:                              ; =>This Inner Loop Header: Depth=1
	flat_load_ubyte v11, v[2:3] offset:1
	v_add_co_u32_e64 v9, s[4:5], 1, v2
	v_addc_co_u32_e64 v10, s[4:5], 0, v3, s[4:5]
	v_mov_b32_e32 v2, v9
	v_mov_b32_e32 v3, v10
	s_waitcnt vmcnt(0) lgkmcnt(0)
	v_cmp_eq_u16_e64 s[4:5], 0, v11
	s_or_b64 s[16:17], s[4:5], s[16:17]
	s_andn2_b64 exec, exec, s[16:17]
	s_cbranch_execnz .LBB7_147
; %bb.148:
	s_or_b64 exec, exec, s[16:17]
	v_sub_co_u32_e64 v2, s[4:5], v9, v6
	v_subb_co_u32_e64 v3, s[4:5], v10, v7, s[4:5]
	v_add_co_u32_e64 v29, s[4:5], 1, v2
	v_addc_co_u32_e64 v30, s[4:5], 0, v3, s[4:5]
	s_or_b64 exec, exec, s[10:11]
	s_and_saveexec_b64 s[4:5], vcc
	s_xor_b64 s[10:11], exec, s[4:5]
	s_cbranch_execz .LBB7_145
.LBB7_149:
	s_waitcnt vmcnt(0)
	v_and_b32_e32 v0, -3, v0
	s_mov_b64 s[16:17], 0
	s_mov_b32 s15, 0
	v_mov_b32_e32 v32, 0
	s_movk_i32 s26, 0xff1f
	v_mov_b32_e32 v11, 2
	v_mov_b32_e32 v12, 1
	s_branch .LBB7_151
.LBB7_150:                              ;   in Loop: Header=BB7_151 Depth=1
	s_or_b64 exec, exec, s[20:21]
	v_sub_co_u32_e32 v29, vcc, v29, v33
	v_subb_co_u32_e32 v30, vcc, v30, v34, vcc
	v_cmp_eq_u64_e32 vcc, 0, v[29:30]
	s_or_b64 s[16:17], vcc, s[16:17]
	v_add_co_u32_e32 v6, vcc, v6, v33
	v_addc_co_u32_e32 v7, vcc, v7, v34, vcc
	s_andn2_b64 exec, exec, s[16:17]
	s_cbranch_execz .LBB7_233
.LBB7_151:                              ; =>This Loop Header: Depth=1
                                        ;     Child Loop BB7_154 Depth 2
                                        ;     Child Loop BB7_162 Depth 2
	;; [unrolled: 1-line block ×11, first 2 shown]
	v_cmp_gt_u64_e32 vcc, 56, v[29:30]
	v_cmp_gt_u64_e64 s[4:5], 8, v[29:30]
	v_cndmask_b32_e32 v34, 0, v30, vcc
	v_cndmask_b32_e32 v33, 56, v29, vcc
                                        ; implicit-def: $sgpr18
	s_and_saveexec_b64 s[20:21], s[4:5]
	s_xor_b64 s[4:5], exec, s[20:21]
	s_cbranch_execz .LBB7_157
; %bb.152:                              ;   in Loop: Header=BB7_151 Depth=1
	v_cmp_ne_u64_e32 vcc, 0, v[29:30]
	s_waitcnt vmcnt(0)
	v_mov_b32_e32 v2, 0
	v_mov_b32_e32 v3, 0
	s_mov_b64 s[20:21], 0
	s_and_saveexec_b64 s[18:19], vcc
	s_cbranch_execz .LBB7_156
; %bb.153:                              ;   in Loop: Header=BB7_151 Depth=1
	v_lshlrev_b64 v[9:10], 3, v[33:34]
	v_mov_b32_e32 v2, 0
	v_mov_b32_e32 v14, v7
	;; [unrolled: 1-line block ×4, first 2 shown]
	s_mov_b64 s[22:23], 0
.LBB7_154:                              ;   Parent Loop BB7_151 Depth=1
                                        ; =>  This Inner Loop Header: Depth=2
	flat_load_ubyte v10, v[13:14]
	v_mov_b32_e32 v16, s15
	v_add_co_u32_e32 v13, vcc, 1, v13
	v_addc_co_u32_e32 v14, vcc, 0, v14, vcc
	s_waitcnt vmcnt(0) lgkmcnt(0)
	v_and_b32_e32 v15, 0xffff, v10
	v_lshlrev_b64 v[15:16], s22, v[15:16]
	s_add_u32 s22, s22, 8
	s_addc_u32 s23, s23, 0
	v_cmp_eq_u32_e32 vcc, s22, v9
	v_or_b32_e32 v3, v16, v3
	s_or_b64 s[20:21], vcc, s[20:21]
	v_or_b32_e32 v2, v15, v2
	s_andn2_b64 exec, exec, s[20:21]
	s_cbranch_execnz .LBB7_154
; %bb.155:                              ;   in Loop: Header=BB7_151 Depth=1
	s_or_b64 exec, exec, s[20:21]
.LBB7_156:                              ;   in Loop: Header=BB7_151 Depth=1
	s_or_b64 exec, exec, s[18:19]
	s_mov_b32 s18, 0
.LBB7_157:                              ;   in Loop: Header=BB7_151 Depth=1
	s_or_saveexec_b64 s[4:5], s[4:5]
	v_mov_b32_e32 v10, v7
	v_mov_b32_e32 v15, s18
	;; [unrolled: 1-line block ×3, first 2 shown]
	s_xor_b64 exec, exec, s[4:5]
	s_cbranch_execz .LBB7_159
; %bb.158:                              ;   in Loop: Header=BB7_151 Depth=1
	s_waitcnt vmcnt(0)
	flat_load_dwordx2 v[2:3], v[6:7]
	v_add_u32_e32 v15, -8, v33
	s_waitcnt vmcnt(0) lgkmcnt(0)
	v_and_b32_e32 v9, 0xff, v3
	v_and_b32_e32 v10, 0xff00, v3
	;; [unrolled: 1-line block ×4, first 2 shown]
	v_or_b32_e32 v9, v9, v10
	v_or3_b32 v3, v9, v13, v3
	v_add_co_u32_e32 v9, vcc, 8, v6
	v_or3_b32 v2, v2, 0, 0
	v_addc_co_u32_e32 v10, vcc, 0, v7, vcc
.LBB7_159:                              ;   in Loop: Header=BB7_151 Depth=1
	s_or_b64 exec, exec, s[4:5]
	v_cmp_gt_u32_e32 vcc, 8, v15
                                        ; implicit-def: $vgpr13_vgpr14
                                        ; implicit-def: $sgpr18
	s_and_saveexec_b64 s[4:5], vcc
	s_xor_b64 s[4:5], exec, s[4:5]
	s_cbranch_execz .LBB7_165
; %bb.160:                              ;   in Loop: Header=BB7_151 Depth=1
	v_mov_b32_e32 v13, 0
	v_mov_b32_e32 v14, 0
	v_cmp_ne_u32_e32 vcc, 0, v15
	s_and_saveexec_b64 s[18:19], vcc
	s_cbranch_execz .LBB7_164
; %bb.161:                              ;   in Loop: Header=BB7_151 Depth=1
	v_mov_b32_e32 v13, 0
	s_mov_b64 s[20:21], 0
	v_mov_b32_e32 v14, 0
	s_mov_b64 s[22:23], 0
	s_mov_b64 s[24:25], 0
.LBB7_162:                              ;   Parent Loop BB7_151 Depth=1
                                        ; =>  This Inner Loop Header: Depth=2
	v_mov_b32_e32 v17, s25
	v_add_co_u32_e32 v16, vcc, s24, v9
	v_addc_co_u32_e32 v17, vcc, v10, v17, vcc
	flat_load_ubyte v16, v[16:17]
	s_add_u32 s24, s24, 1
	v_mov_b32_e32 v17, s15
	s_addc_u32 s25, s25, 0
	v_cmp_eq_u32_e32 vcc, s24, v15
	s_waitcnt vmcnt(0) lgkmcnt(0)
	v_and_b32_e32 v16, 0xffff, v16
	v_lshlrev_b64 v[16:17], s22, v[16:17]
	s_add_u32 s22, s22, 8
	s_addc_u32 s23, s23, 0
	v_or_b32_e32 v14, v17, v14
	s_or_b64 s[20:21], vcc, s[20:21]
	v_or_b32_e32 v13, v16, v13
	s_andn2_b64 exec, exec, s[20:21]
	s_cbranch_execnz .LBB7_162
; %bb.163:                              ;   in Loop: Header=BB7_151 Depth=1
	s_or_b64 exec, exec, s[20:21]
.LBB7_164:                              ;   in Loop: Header=BB7_151 Depth=1
	s_or_b64 exec, exec, s[18:19]
	s_mov_b32 s18, 0
                                        ; implicit-def: $vgpr15
.LBB7_165:                              ;   in Loop: Header=BB7_151 Depth=1
	s_or_saveexec_b64 s[4:5], s[4:5]
	v_mov_b32_e32 v17, s18
	s_xor_b64 exec, exec, s[4:5]
	s_cbranch_execz .LBB7_167
; %bb.166:                              ;   in Loop: Header=BB7_151 Depth=1
	flat_load_dwordx2 v[13:14], v[9:10]
	v_add_u32_e32 v17, -8, v15
	v_add_co_u32_e32 v9, vcc, 8, v9
	v_addc_co_u32_e32 v10, vcc, 0, v10, vcc
	s_waitcnt vmcnt(0) lgkmcnt(0)
	v_and_b32_e32 v15, 0xff, v14
	v_and_b32_e32 v16, 0xff00, v14
	;; [unrolled: 1-line block ×4, first 2 shown]
	v_or_b32_e32 v15, v15, v16
	v_or3_b32 v13, v13, 0, 0
	v_or3_b32 v14, v15, v18, v14
.LBB7_167:                              ;   in Loop: Header=BB7_151 Depth=1
	s_or_b64 exec, exec, s[4:5]
	v_cmp_gt_u32_e32 vcc, 8, v17
                                        ; implicit-def: $sgpr18
	s_and_saveexec_b64 s[4:5], vcc
	s_xor_b64 s[4:5], exec, s[4:5]
	s_cbranch_execz .LBB7_173
; %bb.168:                              ;   in Loop: Header=BB7_151 Depth=1
	v_mov_b32_e32 v15, 0
	v_mov_b32_e32 v16, 0
	v_cmp_ne_u32_e32 vcc, 0, v17
	s_and_saveexec_b64 s[18:19], vcc
	s_cbranch_execz .LBB7_172
; %bb.169:                              ;   in Loop: Header=BB7_151 Depth=1
	v_mov_b32_e32 v15, 0
	s_mov_b64 s[20:21], 0
	v_mov_b32_e32 v16, 0
	s_mov_b64 s[22:23], 0
	s_mov_b64 s[24:25], 0
.LBB7_170:                              ;   Parent Loop BB7_151 Depth=1
                                        ; =>  This Inner Loop Header: Depth=2
	v_mov_b32_e32 v19, s25
	v_add_co_u32_e32 v18, vcc, s24, v9
	v_addc_co_u32_e32 v19, vcc, v10, v19, vcc
	flat_load_ubyte v18, v[18:19]
	s_add_u32 s24, s24, 1
	v_mov_b32_e32 v19, s15
	s_addc_u32 s25, s25, 0
	v_cmp_eq_u32_e32 vcc, s24, v17
	s_waitcnt vmcnt(0) lgkmcnt(0)
	v_and_b32_e32 v18, 0xffff, v18
	v_lshlrev_b64 v[18:19], s22, v[18:19]
	s_add_u32 s22, s22, 8
	s_addc_u32 s23, s23, 0
	v_or_b32_e32 v16, v19, v16
	s_or_b64 s[20:21], vcc, s[20:21]
	v_or_b32_e32 v15, v18, v15
	s_andn2_b64 exec, exec, s[20:21]
	s_cbranch_execnz .LBB7_170
; %bb.171:                              ;   in Loop: Header=BB7_151 Depth=1
	s_or_b64 exec, exec, s[20:21]
.LBB7_172:                              ;   in Loop: Header=BB7_151 Depth=1
	s_or_b64 exec, exec, s[18:19]
	s_mov_b32 s18, 0
                                        ; implicit-def: $vgpr17
.LBB7_173:                              ;   in Loop: Header=BB7_151 Depth=1
	s_or_saveexec_b64 s[4:5], s[4:5]
	v_mov_b32_e32 v19, s18
	s_xor_b64 exec, exec, s[4:5]
	s_cbranch_execz .LBB7_175
; %bb.174:                              ;   in Loop: Header=BB7_151 Depth=1
	flat_load_dwordx2 v[15:16], v[9:10]
	v_add_u32_e32 v19, -8, v17
	v_add_co_u32_e32 v9, vcc, 8, v9
	v_addc_co_u32_e32 v10, vcc, 0, v10, vcc
	s_waitcnt vmcnt(0) lgkmcnt(0)
	v_and_b32_e32 v17, 0xff, v16
	v_and_b32_e32 v18, 0xff00, v16
	;; [unrolled: 1-line block ×4, first 2 shown]
	v_or_b32_e32 v17, v17, v18
	v_or3_b32 v15, v15, 0, 0
	v_or3_b32 v16, v17, v20, v16
.LBB7_175:                              ;   in Loop: Header=BB7_151 Depth=1
	s_or_b64 exec, exec, s[4:5]
	v_cmp_gt_u32_e32 vcc, 8, v19
                                        ; implicit-def: $vgpr17_vgpr18
                                        ; implicit-def: $sgpr18
	s_and_saveexec_b64 s[4:5], vcc
	s_xor_b64 s[4:5], exec, s[4:5]
	s_cbranch_execz .LBB7_181
; %bb.176:                              ;   in Loop: Header=BB7_151 Depth=1
	v_mov_b32_e32 v17, 0
	v_mov_b32_e32 v18, 0
	v_cmp_ne_u32_e32 vcc, 0, v19
	s_and_saveexec_b64 s[18:19], vcc
	s_cbranch_execz .LBB7_180
; %bb.177:                              ;   in Loop: Header=BB7_151 Depth=1
	v_mov_b32_e32 v17, 0
	s_mov_b64 s[20:21], 0
	v_mov_b32_e32 v18, 0
	s_mov_b64 s[22:23], 0
	s_mov_b64 s[24:25], 0
.LBB7_178:                              ;   Parent Loop BB7_151 Depth=1
                                        ; =>  This Inner Loop Header: Depth=2
	v_mov_b32_e32 v21, s25
	v_add_co_u32_e32 v20, vcc, s24, v9
	v_addc_co_u32_e32 v21, vcc, v10, v21, vcc
	flat_load_ubyte v20, v[20:21]
	s_add_u32 s24, s24, 1
	v_mov_b32_e32 v21, s15
	s_addc_u32 s25, s25, 0
	v_cmp_eq_u32_e32 vcc, s24, v19
	s_waitcnt vmcnt(0) lgkmcnt(0)
	v_and_b32_e32 v20, 0xffff, v20
	v_lshlrev_b64 v[20:21], s22, v[20:21]
	s_add_u32 s22, s22, 8
	s_addc_u32 s23, s23, 0
	v_or_b32_e32 v18, v21, v18
	s_or_b64 s[20:21], vcc, s[20:21]
	v_or_b32_e32 v17, v20, v17
	s_andn2_b64 exec, exec, s[20:21]
	s_cbranch_execnz .LBB7_178
; %bb.179:                              ;   in Loop: Header=BB7_151 Depth=1
	s_or_b64 exec, exec, s[20:21]
.LBB7_180:                              ;   in Loop: Header=BB7_151 Depth=1
	s_or_b64 exec, exec, s[18:19]
	s_mov_b32 s18, 0
                                        ; implicit-def: $vgpr19
.LBB7_181:                              ;   in Loop: Header=BB7_151 Depth=1
	s_or_saveexec_b64 s[4:5], s[4:5]
	v_mov_b32_e32 v21, s18
	s_xor_b64 exec, exec, s[4:5]
	s_cbranch_execz .LBB7_183
; %bb.182:                              ;   in Loop: Header=BB7_151 Depth=1
	flat_load_dwordx2 v[17:18], v[9:10]
	v_add_u32_e32 v21, -8, v19
	v_add_co_u32_e32 v9, vcc, 8, v9
	v_addc_co_u32_e32 v10, vcc, 0, v10, vcc
	s_waitcnt vmcnt(0) lgkmcnt(0)
	v_and_b32_e32 v19, 0xff, v18
	v_and_b32_e32 v20, 0xff00, v18
	;; [unrolled: 1-line block ×4, first 2 shown]
	v_or_b32_e32 v19, v19, v20
	v_or3_b32 v17, v17, 0, 0
	v_or3_b32 v18, v19, v22, v18
.LBB7_183:                              ;   in Loop: Header=BB7_151 Depth=1
	s_or_b64 exec, exec, s[4:5]
	v_cmp_gt_u32_e32 vcc, 8, v21
                                        ; implicit-def: $sgpr18
	s_and_saveexec_b64 s[4:5], vcc
	s_xor_b64 s[4:5], exec, s[4:5]
	s_cbranch_execz .LBB7_189
; %bb.184:                              ;   in Loop: Header=BB7_151 Depth=1
	v_mov_b32_e32 v19, 0
	v_mov_b32_e32 v20, 0
	v_cmp_ne_u32_e32 vcc, 0, v21
	s_and_saveexec_b64 s[18:19], vcc
	s_cbranch_execz .LBB7_188
; %bb.185:                              ;   in Loop: Header=BB7_151 Depth=1
	v_mov_b32_e32 v19, 0
	s_mov_b64 s[20:21], 0
	v_mov_b32_e32 v20, 0
	s_mov_b64 s[22:23], 0
	s_mov_b64 s[24:25], 0
.LBB7_186:                              ;   Parent Loop BB7_151 Depth=1
                                        ; =>  This Inner Loop Header: Depth=2
	v_mov_b32_e32 v23, s25
	v_add_co_u32_e32 v22, vcc, s24, v9
	v_addc_co_u32_e32 v23, vcc, v10, v23, vcc
	flat_load_ubyte v22, v[22:23]
	s_add_u32 s24, s24, 1
	v_mov_b32_e32 v23, s15
	s_addc_u32 s25, s25, 0
	v_cmp_eq_u32_e32 vcc, s24, v21
	s_waitcnt vmcnt(0) lgkmcnt(0)
	v_and_b32_e32 v22, 0xffff, v22
	v_lshlrev_b64 v[22:23], s22, v[22:23]
	s_add_u32 s22, s22, 8
	s_addc_u32 s23, s23, 0
	v_or_b32_e32 v20, v23, v20
	s_or_b64 s[20:21], vcc, s[20:21]
	v_or_b32_e32 v19, v22, v19
	s_andn2_b64 exec, exec, s[20:21]
	s_cbranch_execnz .LBB7_186
; %bb.187:                              ;   in Loop: Header=BB7_151 Depth=1
	s_or_b64 exec, exec, s[20:21]
.LBB7_188:                              ;   in Loop: Header=BB7_151 Depth=1
	s_or_b64 exec, exec, s[18:19]
	s_mov_b32 s18, 0
                                        ; implicit-def: $vgpr21
.LBB7_189:                              ;   in Loop: Header=BB7_151 Depth=1
	s_or_saveexec_b64 s[4:5], s[4:5]
	v_mov_b32_e32 v23, s18
	s_xor_b64 exec, exec, s[4:5]
	s_cbranch_execz .LBB7_191
; %bb.190:                              ;   in Loop: Header=BB7_151 Depth=1
	flat_load_dwordx2 v[19:20], v[9:10]
	v_add_u32_e32 v23, -8, v21
	v_add_co_u32_e32 v9, vcc, 8, v9
	v_addc_co_u32_e32 v10, vcc, 0, v10, vcc
	s_waitcnt vmcnt(0) lgkmcnt(0)
	v_and_b32_e32 v21, 0xff, v20
	v_and_b32_e32 v22, 0xff00, v20
	;; [unrolled: 1-line block ×4, first 2 shown]
	v_or_b32_e32 v21, v21, v22
	v_or3_b32 v19, v19, 0, 0
	v_or3_b32 v20, v21, v24, v20
.LBB7_191:                              ;   in Loop: Header=BB7_151 Depth=1
	s_or_b64 exec, exec, s[4:5]
	v_cmp_gt_u32_e32 vcc, 8, v23
                                        ; implicit-def: $vgpr21_vgpr22
                                        ; implicit-def: $sgpr18
	s_and_saveexec_b64 s[4:5], vcc
	s_xor_b64 s[4:5], exec, s[4:5]
	s_cbranch_execz .LBB7_197
; %bb.192:                              ;   in Loop: Header=BB7_151 Depth=1
	v_mov_b32_e32 v21, 0
	v_mov_b32_e32 v22, 0
	v_cmp_ne_u32_e32 vcc, 0, v23
	s_and_saveexec_b64 s[18:19], vcc
	s_cbranch_execz .LBB7_196
; %bb.193:                              ;   in Loop: Header=BB7_151 Depth=1
	v_mov_b32_e32 v21, 0
	s_mov_b64 s[20:21], 0
	v_mov_b32_e32 v22, 0
	s_mov_b64 s[22:23], 0
	s_mov_b64 s[24:25], 0
.LBB7_194:                              ;   Parent Loop BB7_151 Depth=1
                                        ; =>  This Inner Loop Header: Depth=2
	v_mov_b32_e32 v25, s25
	v_add_co_u32_e32 v24, vcc, s24, v9
	v_addc_co_u32_e32 v25, vcc, v10, v25, vcc
	flat_load_ubyte v24, v[24:25]
	s_add_u32 s24, s24, 1
	v_mov_b32_e32 v25, s15
	s_addc_u32 s25, s25, 0
	v_cmp_eq_u32_e32 vcc, s24, v23
	s_waitcnt vmcnt(0) lgkmcnt(0)
	v_and_b32_e32 v24, 0xffff, v24
	v_lshlrev_b64 v[24:25], s22, v[24:25]
	s_add_u32 s22, s22, 8
	s_addc_u32 s23, s23, 0
	v_or_b32_e32 v22, v25, v22
	s_or_b64 s[20:21], vcc, s[20:21]
	v_or_b32_e32 v21, v24, v21
	s_andn2_b64 exec, exec, s[20:21]
	s_cbranch_execnz .LBB7_194
; %bb.195:                              ;   in Loop: Header=BB7_151 Depth=1
	s_or_b64 exec, exec, s[20:21]
.LBB7_196:                              ;   in Loop: Header=BB7_151 Depth=1
	s_or_b64 exec, exec, s[18:19]
	s_mov_b32 s18, 0
                                        ; implicit-def: $vgpr23
.LBB7_197:                              ;   in Loop: Header=BB7_151 Depth=1
	s_or_saveexec_b64 s[4:5], s[4:5]
	v_mov_b32_e32 v25, s18
	s_xor_b64 exec, exec, s[4:5]
	s_cbranch_execz .LBB7_199
; %bb.198:                              ;   in Loop: Header=BB7_151 Depth=1
	flat_load_dwordx2 v[21:22], v[9:10]
	v_add_u32_e32 v25, -8, v23
	v_add_co_u32_e32 v9, vcc, 8, v9
	v_addc_co_u32_e32 v10, vcc, 0, v10, vcc
	s_waitcnt vmcnt(0) lgkmcnt(0)
	v_and_b32_e32 v23, 0xff, v22
	v_and_b32_e32 v24, 0xff00, v22
	;; [unrolled: 1-line block ×4, first 2 shown]
	v_or_b32_e32 v23, v23, v24
	v_or3_b32 v21, v21, 0, 0
	v_or3_b32 v22, v23, v26, v22
.LBB7_199:                              ;   in Loop: Header=BB7_151 Depth=1
	s_or_b64 exec, exec, s[4:5]
	v_cmp_gt_u32_e32 vcc, 8, v25
	s_and_saveexec_b64 s[4:5], vcc
	s_xor_b64 s[4:5], exec, s[4:5]
	s_cbranch_execz .LBB7_205
; %bb.200:                              ;   in Loop: Header=BB7_151 Depth=1
	v_mov_b32_e32 v23, 0
	v_mov_b32_e32 v24, 0
	v_cmp_ne_u32_e32 vcc, 0, v25
	s_and_saveexec_b64 s[18:19], vcc
	s_cbranch_execz .LBB7_204
; %bb.201:                              ;   in Loop: Header=BB7_151 Depth=1
	v_mov_b32_e32 v23, 0
	s_mov_b64 s[20:21], 0
	v_mov_b32_e32 v24, 0
	s_mov_b64 s[22:23], 0
.LBB7_202:                              ;   Parent Loop BB7_151 Depth=1
                                        ; =>  This Inner Loop Header: Depth=2
	flat_load_ubyte v26, v[9:10]
	v_mov_b32_e32 v27, s15
	v_add_co_u32_e32 v9, vcc, 1, v9
	v_add_u32_e32 v25, -1, v25
	v_addc_co_u32_e32 v10, vcc, 0, v10, vcc
	v_cmp_eq_u32_e32 vcc, 0, v25
	s_waitcnt vmcnt(0) lgkmcnt(0)
	v_and_b32_e32 v26, 0xffff, v26
	v_lshlrev_b64 v[26:27], s22, v[26:27]
	s_add_u32 s22, s22, 8
	s_addc_u32 s23, s23, 0
	v_or_b32_e32 v24, v27, v24
	s_or_b64 s[20:21], vcc, s[20:21]
	v_or_b32_e32 v23, v26, v23
	s_andn2_b64 exec, exec, s[20:21]
	s_cbranch_execnz .LBB7_202
; %bb.203:                              ;   in Loop: Header=BB7_151 Depth=1
	s_or_b64 exec, exec, s[20:21]
.LBB7_204:                              ;   in Loop: Header=BB7_151 Depth=1
	s_or_b64 exec, exec, s[18:19]
                                        ; implicit-def: $vgpr9_vgpr10
.LBB7_205:                              ;   in Loop: Header=BB7_151 Depth=1
	s_andn2_saveexec_b64 s[4:5], s[4:5]
	s_cbranch_execz .LBB7_207
; %bb.206:                              ;   in Loop: Header=BB7_151 Depth=1
	flat_load_dwordx2 v[9:10], v[9:10]
	s_waitcnt vmcnt(0) lgkmcnt(0)
	v_and_b32_e32 v23, 0xff, v10
	v_and_b32_e32 v24, 0xff00, v10
	;; [unrolled: 1-line block ×4, first 2 shown]
	v_or_b32_e32 v23, v23, v24
	v_or3_b32 v24, v23, v25, v10
	v_or3_b32 v23, v9, 0, 0
.LBB7_207:                              ;   in Loop: Header=BB7_151 Depth=1
	s_or_b64 exec, exec, s[4:5]
	v_readfirstlane_b32 s4, v44
	v_mov_b32_e32 v9, 0
	v_mov_b32_e32 v10, 0
	v_cmp_eq_u32_e64 s[4:5], s4, v44
	s_and_saveexec_b64 s[18:19], s[4:5]
	s_cbranch_execz .LBB7_213
; %bb.208:                              ;   in Loop: Header=BB7_151 Depth=1
	global_load_dwordx2 v[27:28], v32, s[48:49] offset:24 glc
	s_waitcnt vmcnt(0)
	buffer_wbinvl1_vol
	global_load_dwordx2 v[9:10], v32, s[48:49] offset:40
	global_load_dwordx2 v[25:26], v32, s[48:49]
	s_waitcnt vmcnt(1)
	v_and_b32_e32 v9, v9, v27
	v_and_b32_e32 v10, v10, v28
	v_mul_lo_u32 v10, v10, 24
	v_mul_hi_u32 v31, v9, 24
	v_mul_lo_u32 v9, v9, 24
	v_add_u32_e32 v10, v31, v10
	s_waitcnt vmcnt(0)
	v_add_co_u32_e32 v9, vcc, v25, v9
	v_addc_co_u32_e32 v10, vcc, v26, v10, vcc
	global_load_dwordx2 v[25:26], v[9:10], off glc
	s_waitcnt vmcnt(0)
	global_atomic_cmpswap_x2 v[9:10], v32, v[25:28], s[48:49] offset:24 glc
	s_waitcnt vmcnt(0)
	buffer_wbinvl1_vol
	v_cmp_ne_u64_e32 vcc, v[9:10], v[27:28]
	s_and_saveexec_b64 s[20:21], vcc
	s_cbranch_execz .LBB7_212
; %bb.209:                              ;   in Loop: Header=BB7_151 Depth=1
	s_mov_b64 s[22:23], 0
.LBB7_210:                              ;   Parent Loop BB7_151 Depth=1
                                        ; =>  This Inner Loop Header: Depth=2
	s_sleep 1
	global_load_dwordx2 v[25:26], v32, s[48:49] offset:40
	global_load_dwordx2 v[38:39], v32, s[48:49]
	v_mov_b32_e32 v28, v10
	v_mov_b32_e32 v27, v9
	s_waitcnt vmcnt(1)
	v_and_b32_e32 v9, v25, v27
	s_waitcnt vmcnt(0)
	v_mad_u64_u32 v[9:10], s[24:25], v9, 24, v[38:39]
	v_and_b32_e32 v25, v26, v28
	v_mad_u64_u32 v[25:26], s[24:25], v25, 24, v[10:11]
	v_mov_b32_e32 v10, v25
	global_load_dwordx2 v[25:26], v[9:10], off glc
	s_waitcnt vmcnt(0)
	global_atomic_cmpswap_x2 v[9:10], v32, v[25:28], s[48:49] offset:24 glc
	s_waitcnt vmcnt(0)
	buffer_wbinvl1_vol
	v_cmp_eq_u64_e32 vcc, v[9:10], v[27:28]
	s_or_b64 s[22:23], vcc, s[22:23]
	s_andn2_b64 exec, exec, s[22:23]
	s_cbranch_execnz .LBB7_210
; %bb.211:                              ;   in Loop: Header=BB7_151 Depth=1
	s_or_b64 exec, exec, s[22:23]
.LBB7_212:                              ;   in Loop: Header=BB7_151 Depth=1
	s_or_b64 exec, exec, s[20:21]
.LBB7_213:                              ;   in Loop: Header=BB7_151 Depth=1
	s_or_b64 exec, exec, s[18:19]
	global_load_dwordx2 v[38:39], v32, s[48:49] offset:40
	global_load_dwordx4 v[25:28], v32, s[48:49]
	v_readfirstlane_b32 s18, v9
	v_readfirstlane_b32 s19, v10
	s_mov_b64 s[20:21], exec
	s_waitcnt vmcnt(1)
	v_readfirstlane_b32 s22, v38
	v_readfirstlane_b32 s23, v39
	s_and_b64 s[22:23], s[18:19], s[22:23]
	s_mul_i32 s24, s23, 24
	s_mul_hi_u32 s25, s22, 24
	s_mul_i32 s27, s22, 24
	s_add_i32 s24, s25, s24
	v_mov_b32_e32 v9, s24
	s_waitcnt vmcnt(0)
	v_add_co_u32_e32 v38, vcc, s27, v25
	v_addc_co_u32_e32 v39, vcc, v26, v9, vcc
	s_and_saveexec_b64 s[24:25], s[4:5]
	s_cbranch_execz .LBB7_215
; %bb.214:                              ;   in Loop: Header=BB7_151 Depth=1
	v_mov_b32_e32 v9, s20
	v_mov_b32_e32 v10, s21
	global_store_dwordx4 v[38:39], v[9:12], off offset:8
.LBB7_215:                              ;   in Loop: Header=BB7_151 Depth=1
	s_or_b64 exec, exec, s[24:25]
	s_lshl_b64 s[20:21], s[22:23], 12
	v_mov_b32_e32 v9, s21
	v_add_co_u32_e32 v27, vcc, s20, v27
	v_addc_co_u32_e32 v28, vcc, v28, v9, vcc
	v_cmp_lt_u64_e32 vcc, 56, v[29:30]
	v_or_b32_e32 v9, 2, v0
	v_cndmask_b32_e32 v0, v9, v0, vcc
	v_lshl_add_u32 v9, v33, 2, 28
	v_and_b32_e32 v9, 0x1e0, v9
	v_and_or_b32 v0, v0, s26, v9
	v_readfirstlane_b32 s20, v27
	v_readfirstlane_b32 s21, v28
	s_nop 4
	global_store_dwordx4 v40, v[0:3], s[20:21]
	global_store_dwordx4 v40, v[13:16], s[20:21] offset:16
	global_store_dwordx4 v40, v[17:20], s[20:21] offset:32
	;; [unrolled: 1-line block ×3, first 2 shown]
	s_and_saveexec_b64 s[20:21], s[4:5]
	s_cbranch_execz .LBB7_223
; %bb.216:                              ;   in Loop: Header=BB7_151 Depth=1
	global_load_dwordx2 v[15:16], v32, s[48:49] offset:32 glc
	global_load_dwordx2 v[0:1], v32, s[48:49] offset:40
	v_mov_b32_e32 v13, s18
	v_mov_b32_e32 v14, s19
	s_waitcnt vmcnt(0)
	v_readfirstlane_b32 s22, v0
	v_readfirstlane_b32 s23, v1
	s_and_b64 s[22:23], s[22:23], s[18:19]
	s_mul_i32 s23, s23, 24
	s_mul_hi_u32 s24, s22, 24
	s_mul_i32 s22, s22, 24
	s_add_i32 s23, s24, s23
	v_mov_b32_e32 v0, s23
	v_add_co_u32_e32 v9, vcc, s22, v25
	v_addc_co_u32_e32 v10, vcc, v26, v0, vcc
	global_store_dwordx2 v[9:10], v[15:16], off
	s_waitcnt vmcnt(0)
	global_atomic_cmpswap_x2 v[2:3], v32, v[13:16], s[48:49] offset:32 glc
	s_waitcnt vmcnt(0)
	v_cmp_ne_u64_e32 vcc, v[2:3], v[15:16]
	s_and_saveexec_b64 s[22:23], vcc
	s_cbranch_execz .LBB7_219
; %bb.217:                              ;   in Loop: Header=BB7_151 Depth=1
	s_mov_b64 s[24:25], 0
.LBB7_218:                              ;   Parent Loop BB7_151 Depth=1
                                        ; =>  This Inner Loop Header: Depth=2
	s_sleep 1
	global_store_dwordx2 v[9:10], v[2:3], off
	v_mov_b32_e32 v0, s18
	v_mov_b32_e32 v1, s19
	s_waitcnt vmcnt(0)
	global_atomic_cmpswap_x2 v[0:1], v32, v[0:3], s[48:49] offset:32 glc
	s_waitcnt vmcnt(0)
	v_cmp_eq_u64_e32 vcc, v[0:1], v[2:3]
	v_mov_b32_e32 v3, v1
	s_or_b64 s[24:25], vcc, s[24:25]
	v_mov_b32_e32 v2, v0
	s_andn2_b64 exec, exec, s[24:25]
	s_cbranch_execnz .LBB7_218
.LBB7_219:                              ;   in Loop: Header=BB7_151 Depth=1
	s_or_b64 exec, exec, s[22:23]
	global_load_dwordx2 v[0:1], v32, s[48:49] offset:16
	s_mov_b64 s[24:25], exec
	v_mbcnt_lo_u32_b32 v2, s24, 0
	v_mbcnt_hi_u32_b32 v2, s25, v2
	v_cmp_eq_u32_e32 vcc, 0, v2
	s_and_saveexec_b64 s[22:23], vcc
	s_cbranch_execz .LBB7_221
; %bb.220:                              ;   in Loop: Header=BB7_151 Depth=1
	s_bcnt1_i32_b64 s24, s[24:25]
	v_mov_b32_e32 v31, s24
	s_waitcnt vmcnt(0)
	global_atomic_add_x2 v[0:1], v[31:32], off offset:8
.LBB7_221:                              ;   in Loop: Header=BB7_151 Depth=1
	s_or_b64 exec, exec, s[22:23]
	s_waitcnt vmcnt(0)
	global_load_dwordx2 v[2:3], v[0:1], off offset:16
	s_waitcnt vmcnt(0)
	v_cmp_eq_u64_e32 vcc, 0, v[2:3]
	s_cbranch_vccnz .LBB7_223
; %bb.222:                              ;   in Loop: Header=BB7_151 Depth=1
	global_load_dword v31, v[0:1], off offset:24
	s_waitcnt vmcnt(0)
	v_and_b32_e32 v0, 0xffffff, v31
	v_readfirstlane_b32 m0, v0
	global_store_dwordx2 v[2:3], v[31:32], off
	s_sendmsg sendmsg(MSG_INTERRUPT)
.LBB7_223:                              ;   in Loop: Header=BB7_151 Depth=1
	s_or_b64 exec, exec, s[20:21]
	v_add_co_u32_e32 v0, vcc, v27, v40
	v_addc_co_u32_e32 v1, vcc, 0, v28, vcc
	s_branch .LBB7_227
.LBB7_224:                              ;   in Loop: Header=BB7_227 Depth=2
	s_or_b64 exec, exec, s[20:21]
	v_readfirstlane_b32 s20, v2
	s_cmp_eq_u32 s20, 0
	s_cbranch_scc1 .LBB7_226
; %bb.225:                              ;   in Loop: Header=BB7_227 Depth=2
	s_sleep 1
	s_cbranch_execnz .LBB7_227
	s_branch .LBB7_229
.LBB7_226:                              ;   in Loop: Header=BB7_151 Depth=1
	s_branch .LBB7_229
.LBB7_227:                              ;   Parent Loop BB7_151 Depth=1
                                        ; =>  This Inner Loop Header: Depth=2
	v_mov_b32_e32 v2, 1
	s_and_saveexec_b64 s[20:21], s[4:5]
	s_cbranch_execz .LBB7_224
; %bb.228:                              ;   in Loop: Header=BB7_227 Depth=2
	global_load_dword v2, v[38:39], off offset:20 glc
	s_waitcnt vmcnt(0)
	buffer_wbinvl1_vol
	v_and_b32_e32 v2, 1, v2
	s_branch .LBB7_224
.LBB7_229:                              ;   in Loop: Header=BB7_151 Depth=1
	global_load_dwordx4 v[0:3], v[0:1], off
	s_and_saveexec_b64 s[20:21], s[4:5]
	s_cbranch_execz .LBB7_150
; %bb.230:                              ;   in Loop: Header=BB7_151 Depth=1
	global_load_dwordx2 v[2:3], v32, s[48:49] offset:40
	global_load_dwordx2 v[9:10], v32, s[48:49] offset:24 glc
	global_load_dwordx2 v[16:17], v32, s[48:49]
	v_mov_b32_e32 v14, s19
	s_waitcnt vmcnt(2)
	v_add_co_u32_e32 v15, vcc, 1, v2
	v_addc_co_u32_e32 v18, vcc, 0, v3, vcc
	v_add_co_u32_e32 v13, vcc, s18, v15
	v_addc_co_u32_e32 v14, vcc, v18, v14, vcc
	v_cmp_eq_u64_e32 vcc, 0, v[13:14]
	v_cndmask_b32_e32 v14, v14, v18, vcc
	v_cndmask_b32_e32 v13, v13, v15, vcc
	v_and_b32_e32 v3, v14, v3
	v_and_b32_e32 v2, v13, v2
	v_mul_lo_u32 v3, v3, 24
	v_mul_hi_u32 v18, v2, 24
	v_mul_lo_u32 v2, v2, 24
	s_waitcnt vmcnt(1)
	v_mov_b32_e32 v15, v9
	v_add_u32_e32 v3, v18, v3
	s_waitcnt vmcnt(0)
	v_add_co_u32_e32 v2, vcc, v16, v2
	v_addc_co_u32_e32 v3, vcc, v17, v3, vcc
	global_store_dwordx2 v[2:3], v[9:10], off
	v_mov_b32_e32 v16, v10
	s_waitcnt vmcnt(0)
	global_atomic_cmpswap_x2 v[15:16], v32, v[13:16], s[48:49] offset:24 glc
	s_waitcnt vmcnt(0)
	v_cmp_ne_u64_e32 vcc, v[15:16], v[9:10]
	s_and_b64 exec, exec, vcc
	s_cbranch_execz .LBB7_150
; %bb.231:                              ;   in Loop: Header=BB7_151 Depth=1
	s_mov_b64 s[4:5], 0
.LBB7_232:                              ;   Parent Loop BB7_151 Depth=1
                                        ; =>  This Inner Loop Header: Depth=2
	s_sleep 1
	global_store_dwordx2 v[2:3], v[15:16], off
	s_waitcnt vmcnt(0)
	global_atomic_cmpswap_x2 v[9:10], v32, v[13:16], s[48:49] offset:24 glc
	s_waitcnt vmcnt(0)
	v_cmp_eq_u64_e32 vcc, v[9:10], v[15:16]
	v_mov_b32_e32 v16, v10
	s_or_b64 s[4:5], vcc, s[4:5]
	v_mov_b32_e32 v15, v9
	s_andn2_b64 exec, exec, s[4:5]
	s_cbranch_execnz .LBB7_232
	s_branch .LBB7_150
.LBB7_233:
	s_or_b64 exec, exec, s[16:17]
                                        ; implicit-def: $vgpr0_vgpr1
	s_andn2_saveexec_b64 s[10:11], s[10:11]
	s_cbranch_execz .LBB7_260
.LBB7_234:
	v_readfirstlane_b32 s4, v44
	v_mov_b32_e32 v6, 0
	v_mov_b32_e32 v7, 0
	v_cmp_eq_u32_e64 s[4:5], s4, v44
	s_and_saveexec_b64 s[16:17], s[4:5]
	s_cbranch_execz .LBB7_240
; %bb.235:
	s_waitcnt vmcnt(0)
	v_mov_b32_e32 v2, 0
	global_load_dwordx2 v[11:12], v2, s[48:49] offset:24 glc
	s_waitcnt vmcnt(0)
	buffer_wbinvl1_vol
	global_load_dwordx2 v[6:7], v2, s[48:49] offset:40
	global_load_dwordx2 v[9:10], v2, s[48:49]
	s_waitcnt vmcnt(1)
	v_and_b32_e32 v3, v6, v11
	v_and_b32_e32 v6, v7, v12
	v_mul_lo_u32 v6, v6, 24
	v_mul_hi_u32 v7, v3, 24
	v_mul_lo_u32 v3, v3, 24
	v_add_u32_e32 v7, v7, v6
	s_waitcnt vmcnt(0)
	v_add_co_u32_e32 v6, vcc, v9, v3
	v_addc_co_u32_e32 v7, vcc, v10, v7, vcc
	global_load_dwordx2 v[9:10], v[6:7], off glc
	s_waitcnt vmcnt(0)
	global_atomic_cmpswap_x2 v[6:7], v2, v[9:12], s[48:49] offset:24 glc
	s_waitcnt vmcnt(0)
	buffer_wbinvl1_vol
	v_cmp_ne_u64_e32 vcc, v[6:7], v[11:12]
	s_and_saveexec_b64 s[18:19], vcc
	s_cbranch_execz .LBB7_239
; %bb.236:
	s_mov_b64 s[20:21], 0
.LBB7_237:                              ; =>This Inner Loop Header: Depth=1
	s_sleep 1
	global_load_dwordx2 v[9:10], v2, s[48:49] offset:40
	global_load_dwordx2 v[13:14], v2, s[48:49]
	v_mov_b32_e32 v12, v7
	v_mov_b32_e32 v11, v6
	s_waitcnt vmcnt(1)
	v_and_b32_e32 v3, v9, v11
	s_waitcnt vmcnt(0)
	v_mad_u64_u32 v[6:7], s[22:23], v3, 24, v[13:14]
	v_and_b32_e32 v9, v10, v12
	v_mov_b32_e32 v3, v7
	v_mad_u64_u32 v[9:10], s[22:23], v9, 24, v[3:4]
	v_mov_b32_e32 v7, v9
	global_load_dwordx2 v[9:10], v[6:7], off glc
	s_waitcnt vmcnt(0)
	global_atomic_cmpswap_x2 v[6:7], v2, v[9:12], s[48:49] offset:24 glc
	s_waitcnt vmcnt(0)
	buffer_wbinvl1_vol
	v_cmp_eq_u64_e32 vcc, v[6:7], v[11:12]
	s_or_b64 s[20:21], vcc, s[20:21]
	s_andn2_b64 exec, exec, s[20:21]
	s_cbranch_execnz .LBB7_237
; %bb.238:
	s_or_b64 exec, exec, s[20:21]
.LBB7_239:
	s_or_b64 exec, exec, s[18:19]
.LBB7_240:
	s_or_b64 exec, exec, s[16:17]
	s_waitcnt vmcnt(0)
	v_mov_b32_e32 v2, 0
	global_load_dwordx2 v[13:14], v2, s[48:49] offset:40
	global_load_dwordx4 v[9:12], v2, s[48:49]
	v_readfirstlane_b32 s16, v6
	v_readfirstlane_b32 s17, v7
	s_mov_b64 s[18:19], exec
	s_waitcnt vmcnt(1)
	v_readfirstlane_b32 s20, v13
	v_readfirstlane_b32 s21, v14
	s_and_b64 s[20:21], s[16:17], s[20:21]
	s_mul_i32 s15, s21, 24
	s_mul_hi_u32 s22, s20, 24
	s_mul_i32 s23, s20, 24
	s_add_i32 s15, s22, s15
	v_mov_b32_e32 v3, s15
	s_waitcnt vmcnt(0)
	v_add_co_u32_e32 v6, vcc, s23, v9
	v_addc_co_u32_e32 v7, vcc, v10, v3, vcc
	s_and_saveexec_b64 s[22:23], s[4:5]
	s_cbranch_execz .LBB7_242
; %bb.241:
	v_mov_b32_e32 v13, s18
	v_mov_b32_e32 v14, s19
	;; [unrolled: 1-line block ×4, first 2 shown]
	global_store_dwordx4 v[6:7], v[13:16], off offset:8
.LBB7_242:
	s_or_b64 exec, exec, s[22:23]
	s_lshl_b64 s[18:19], s[20:21], 12
	v_mov_b32_e32 v3, s19
	v_add_co_u32_e32 v11, vcc, s18, v11
	v_addc_co_u32_e32 v12, vcc, v12, v3, vcc
	s_movk_i32 s15, 0xff1d
	v_and_or_b32 v0, v0, s15, 34
	s_mov_b32 s20, 0
	v_mov_b32_e32 v3, v2
	v_readfirstlane_b32 s18, v11
	v_readfirstlane_b32 s19, v12
	s_mov_b32 s21, s20
	s_mov_b32 s22, s20
	;; [unrolled: 1-line block ×3, first 2 shown]
	s_nop 1
	global_store_dwordx4 v40, v[0:3], s[18:19]
	s_nop 0
	v_mov_b32_e32 v0, s20
	v_mov_b32_e32 v1, s21
	;; [unrolled: 1-line block ×4, first 2 shown]
	global_store_dwordx4 v40, v[0:3], s[18:19] offset:16
	global_store_dwordx4 v40, v[0:3], s[18:19] offset:32
	global_store_dwordx4 v40, v[0:3], s[18:19] offset:48
	s_and_saveexec_b64 s[18:19], s[4:5]
	s_cbranch_execz .LBB7_250
; %bb.243:
	v_mov_b32_e32 v11, 0
	global_load_dwordx2 v[14:15], v11, s[48:49] offset:32 glc
	global_load_dwordx2 v[0:1], v11, s[48:49] offset:40
	v_mov_b32_e32 v12, s16
	v_mov_b32_e32 v13, s17
	s_waitcnt vmcnt(0)
	v_readfirstlane_b32 s20, v0
	v_readfirstlane_b32 s21, v1
	s_and_b64 s[20:21], s[20:21], s[16:17]
	s_mul_i32 s15, s21, 24
	s_mul_hi_u32 s21, s20, 24
	s_mul_i32 s20, s20, 24
	s_add_i32 s15, s21, s15
	v_mov_b32_e32 v0, s15
	v_add_co_u32_e32 v9, vcc, s20, v9
	v_addc_co_u32_e32 v10, vcc, v10, v0, vcc
	global_store_dwordx2 v[9:10], v[14:15], off
	s_waitcnt vmcnt(0)
	global_atomic_cmpswap_x2 v[2:3], v11, v[12:15], s[48:49] offset:32 glc
	s_waitcnt vmcnt(0)
	v_cmp_ne_u64_e32 vcc, v[2:3], v[14:15]
	s_and_saveexec_b64 s[20:21], vcc
	s_cbranch_execz .LBB7_246
; %bb.244:
	s_mov_b64 s[22:23], 0
.LBB7_245:                              ; =>This Inner Loop Header: Depth=1
	s_sleep 1
	global_store_dwordx2 v[9:10], v[2:3], off
	v_mov_b32_e32 v0, s16
	v_mov_b32_e32 v1, s17
	s_waitcnt vmcnt(0)
	global_atomic_cmpswap_x2 v[0:1], v11, v[0:3], s[48:49] offset:32 glc
	s_waitcnt vmcnt(0)
	v_cmp_eq_u64_e32 vcc, v[0:1], v[2:3]
	v_mov_b32_e32 v3, v1
	s_or_b64 s[22:23], vcc, s[22:23]
	v_mov_b32_e32 v2, v0
	s_andn2_b64 exec, exec, s[22:23]
	s_cbranch_execnz .LBB7_245
.LBB7_246:
	s_or_b64 exec, exec, s[20:21]
	v_mov_b32_e32 v3, 0
	global_load_dwordx2 v[0:1], v3, s[48:49] offset:16
	s_mov_b64 s[20:21], exec
	v_mbcnt_lo_u32_b32 v2, s20, 0
	v_mbcnt_hi_u32_b32 v2, s21, v2
	v_cmp_eq_u32_e32 vcc, 0, v2
	s_and_saveexec_b64 s[22:23], vcc
	s_cbranch_execz .LBB7_248
; %bb.247:
	s_bcnt1_i32_b64 s15, s[20:21]
	v_mov_b32_e32 v2, s15
	s_waitcnt vmcnt(0)
	global_atomic_add_x2 v[0:1], v[2:3], off offset:8
.LBB7_248:
	s_or_b64 exec, exec, s[22:23]
	s_waitcnt vmcnt(0)
	global_load_dwordx2 v[2:3], v[0:1], off offset:16
	s_waitcnt vmcnt(0)
	v_cmp_eq_u64_e32 vcc, 0, v[2:3]
	s_cbranch_vccnz .LBB7_250
; %bb.249:
	global_load_dword v0, v[0:1], off offset:24
	v_mov_b32_e32 v1, 0
	s_waitcnt vmcnt(0)
	global_store_dwordx2 v[2:3], v[0:1], off
	v_and_b32_e32 v0, 0xffffff, v0
	v_readfirstlane_b32 m0, v0
	s_sendmsg sendmsg(MSG_INTERRUPT)
.LBB7_250:
	s_or_b64 exec, exec, s[18:19]
	s_branch .LBB7_254
.LBB7_251:                              ;   in Loop: Header=BB7_254 Depth=1
	s_or_b64 exec, exec, s[18:19]
	v_readfirstlane_b32 s15, v0
	s_cmp_eq_u32 s15, 0
	s_cbranch_scc1 .LBB7_253
; %bb.252:                              ;   in Loop: Header=BB7_254 Depth=1
	s_sleep 1
	s_cbranch_execnz .LBB7_254
	s_branch .LBB7_256
.LBB7_253:
	s_branch .LBB7_256
.LBB7_254:                              ; =>This Inner Loop Header: Depth=1
	v_mov_b32_e32 v0, 1
	s_and_saveexec_b64 s[18:19], s[4:5]
	s_cbranch_execz .LBB7_251
; %bb.255:                              ;   in Loop: Header=BB7_254 Depth=1
	global_load_dword v0, v[6:7], off offset:20 glc
	s_waitcnt vmcnt(0)
	buffer_wbinvl1_vol
	v_and_b32_e32 v0, 1, v0
	s_branch .LBB7_251
.LBB7_256:
	s_and_saveexec_b64 s[18:19], s[4:5]
	s_cbranch_execz .LBB7_259
; %bb.257:
	v_mov_b32_e32 v9, 0
	global_load_dwordx2 v[2:3], v9, s[48:49] offset:40
	global_load_dwordx2 v[10:11], v9, s[48:49] offset:24 glc
	global_load_dwordx2 v[6:7], v9, s[48:49]
	v_mov_b32_e32 v1, s17
	s_mov_b64 s[4:5], 0
	s_waitcnt vmcnt(2)
	v_add_co_u32_e32 v12, vcc, 1, v2
	v_addc_co_u32_e32 v13, vcc, 0, v3, vcc
	v_add_co_u32_e32 v0, vcc, s16, v12
	v_addc_co_u32_e32 v1, vcc, v13, v1, vcc
	v_cmp_eq_u64_e32 vcc, 0, v[0:1]
	v_cndmask_b32_e32 v1, v1, v13, vcc
	v_cndmask_b32_e32 v0, v0, v12, vcc
	v_and_b32_e32 v3, v1, v3
	v_and_b32_e32 v2, v0, v2
	v_mul_lo_u32 v3, v3, 24
	v_mul_hi_u32 v12, v2, 24
	v_mul_lo_u32 v13, v2, 24
	s_waitcnt vmcnt(1)
	v_mov_b32_e32 v2, v10
	v_add_u32_e32 v3, v12, v3
	s_waitcnt vmcnt(0)
	v_add_co_u32_e32 v6, vcc, v6, v13
	v_addc_co_u32_e32 v7, vcc, v7, v3, vcc
	global_store_dwordx2 v[6:7], v[10:11], off
	v_mov_b32_e32 v3, v11
	s_waitcnt vmcnt(0)
	global_atomic_cmpswap_x2 v[2:3], v9, v[0:3], s[48:49] offset:24 glc
	s_waitcnt vmcnt(0)
	v_cmp_ne_u64_e32 vcc, v[2:3], v[10:11]
	s_and_b64 exec, exec, vcc
	s_cbranch_execz .LBB7_259
.LBB7_258:                              ; =>This Inner Loop Header: Depth=1
	s_sleep 1
	global_store_dwordx2 v[6:7], v[2:3], off
	s_waitcnt vmcnt(0)
	global_atomic_cmpswap_x2 v[10:11], v9, v[0:3], s[48:49] offset:24 glc
	s_waitcnt vmcnt(0)
	v_cmp_eq_u64_e32 vcc, v[10:11], v[2:3]
	v_mov_b32_e32 v2, v10
	s_or_b64 s[4:5], vcc, s[4:5]
	v_mov_b32_e32 v3, v11
	s_andn2_b64 exec, exec, s[4:5]
	s_cbranch_execnz .LBB7_258
.LBB7_259:
	s_or_b64 exec, exec, s[18:19]
.LBB7_260:
	s_or_b64 exec, exec, s[10:11]
	v_readfirstlane_b32 s4, v44
	v_mov_b32_e32 v6, 0
	v_mov_b32_e32 v7, 0
	v_cmp_eq_u32_e64 s[4:5], s4, v44
	s_and_saveexec_b64 s[10:11], s[4:5]
	s_cbranch_execz .LBB7_266
; %bb.261:
	s_waitcnt vmcnt(0)
	v_mov_b32_e32 v0, 0
	global_load_dwordx2 v[11:12], v0, s[48:49] offset:24 glc
	s_waitcnt vmcnt(0)
	buffer_wbinvl1_vol
	global_load_dwordx2 v[1:2], v0, s[48:49] offset:40
	global_load_dwordx2 v[6:7], v0, s[48:49]
	s_waitcnt vmcnt(1)
	v_and_b32_e32 v1, v1, v11
	v_and_b32_e32 v2, v2, v12
	v_mul_lo_u32 v2, v2, 24
	v_mul_hi_u32 v3, v1, 24
	v_mul_lo_u32 v1, v1, 24
	v_add_u32_e32 v2, v3, v2
	s_waitcnt vmcnt(0)
	v_add_co_u32_e32 v1, vcc, v6, v1
	v_addc_co_u32_e32 v2, vcc, v7, v2, vcc
	global_load_dwordx2 v[9:10], v[1:2], off glc
	s_waitcnt vmcnt(0)
	global_atomic_cmpswap_x2 v[6:7], v0, v[9:12], s[48:49] offset:24 glc
	s_waitcnt vmcnt(0)
	buffer_wbinvl1_vol
	v_cmp_ne_u64_e32 vcc, v[6:7], v[11:12]
	s_and_saveexec_b64 s[16:17], vcc
	s_cbranch_execz .LBB7_265
; %bb.262:
	s_mov_b64 s[18:19], 0
.LBB7_263:                              ; =>This Inner Loop Header: Depth=1
	s_sleep 1
	global_load_dwordx2 v[1:2], v0, s[48:49] offset:40
	global_load_dwordx2 v[9:10], v0, s[48:49]
	v_mov_b32_e32 v12, v7
	v_mov_b32_e32 v11, v6
	s_waitcnt vmcnt(1)
	v_and_b32_e32 v1, v1, v11
	s_waitcnt vmcnt(0)
	v_mad_u64_u32 v[6:7], s[20:21], v1, 24, v[9:10]
	v_and_b32_e32 v2, v2, v12
	v_mov_b32_e32 v1, v7
	v_mad_u64_u32 v[1:2], s[20:21], v2, 24, v[1:2]
	v_mov_b32_e32 v7, v1
	global_load_dwordx2 v[9:10], v[6:7], off glc
	s_waitcnt vmcnt(0)
	global_atomic_cmpswap_x2 v[6:7], v0, v[9:12], s[48:49] offset:24 glc
	s_waitcnt vmcnt(0)
	buffer_wbinvl1_vol
	v_cmp_eq_u64_e32 vcc, v[6:7], v[11:12]
	s_or_b64 s[18:19], vcc, s[18:19]
	s_andn2_b64 exec, exec, s[18:19]
	s_cbranch_execnz .LBB7_263
; %bb.264:
	s_or_b64 exec, exec, s[18:19]
.LBB7_265:
	s_or_b64 exec, exec, s[16:17]
.LBB7_266:
	s_or_b64 exec, exec, s[10:11]
	s_waitcnt vmcnt(0)
	v_mov_b32_e32 v10, 0
	global_load_dwordx2 v[11:12], v10, s[48:49] offset:40
	global_load_dwordx4 v[0:3], v10, s[48:49]
	v_readfirstlane_b32 s10, v6
	v_readfirstlane_b32 s11, v7
	s_mov_b64 s[16:17], exec
	s_waitcnt vmcnt(1)
	v_readfirstlane_b32 s18, v11
	v_readfirstlane_b32 s19, v12
	s_and_b64 s[18:19], s[10:11], s[18:19]
	s_mul_i32 s15, s19, 24
	s_mul_hi_u32 s20, s18, 24
	s_mul_i32 s21, s18, 24
	s_add_i32 s15, s20, s15
	v_mov_b32_e32 v7, s15
	s_waitcnt vmcnt(0)
	v_add_co_u32_e32 v6, vcc, s21, v0
	v_addc_co_u32_e32 v7, vcc, v1, v7, vcc
	s_and_saveexec_b64 s[20:21], s[4:5]
	s_cbranch_execz .LBB7_268
; %bb.267:
	v_mov_b32_e32 v11, s16
	v_mov_b32_e32 v12, s17
	;; [unrolled: 1-line block ×4, first 2 shown]
	global_store_dwordx4 v[6:7], v[11:14], off offset:8
.LBB7_268:
	s_or_b64 exec, exec, s[20:21]
	s_lshl_b64 s[16:17], s[18:19], 12
	v_mov_b32_e32 v9, s17
	v_add_co_u32_e32 v2, vcc, s16, v2
	v_addc_co_u32_e32 v3, vcc, v3, v9, vcc
	s_mov_b32 s16, 0
	v_mov_b32_e32 v9, 33
	v_mov_b32_e32 v11, v10
	;; [unrolled: 1-line block ×3, first 2 shown]
	v_readfirstlane_b32 s20, v2
	v_readfirstlane_b32 s21, v3
	v_add_co_u32_e32 v13, vcc, v2, v40
	s_mov_b32 s17, s16
	s_mov_b32 s18, s16
	;; [unrolled: 1-line block ×3, first 2 shown]
	s_nop 0
	global_store_dwordx4 v40, v[9:12], s[20:21]
	v_addc_co_u32_e32 v14, vcc, 0, v3, vcc
	v_mov_b32_e32 v9, s16
	v_mov_b32_e32 v10, s17
	;; [unrolled: 1-line block ×4, first 2 shown]
	global_store_dwordx4 v40, v[9:12], s[20:21] offset:16
	global_store_dwordx4 v40, v[9:12], s[20:21] offset:32
	;; [unrolled: 1-line block ×3, first 2 shown]
	s_and_saveexec_b64 s[16:17], s[4:5]
	s_cbranch_execz .LBB7_276
; %bb.269:
	v_mov_b32_e32 v11, 0
	global_load_dwordx2 v[17:18], v11, s[48:49] offset:32 glc
	global_load_dwordx2 v[2:3], v11, s[48:49] offset:40
	v_mov_b32_e32 v15, s10
	v_mov_b32_e32 v16, s11
	s_waitcnt vmcnt(0)
	v_readfirstlane_b32 s18, v2
	v_readfirstlane_b32 s19, v3
	s_and_b64 s[18:19], s[18:19], s[10:11]
	s_mul_i32 s15, s19, 24
	s_mul_hi_u32 s19, s18, 24
	s_mul_i32 s18, s18, 24
	s_add_i32 s15, s19, s15
	v_mov_b32_e32 v2, s15
	v_add_co_u32_e32 v9, vcc, s18, v0
	v_addc_co_u32_e32 v10, vcc, v1, v2, vcc
	global_store_dwordx2 v[9:10], v[17:18], off
	s_waitcnt vmcnt(0)
	global_atomic_cmpswap_x2 v[2:3], v11, v[15:18], s[48:49] offset:32 glc
	s_waitcnt vmcnt(0)
	v_cmp_ne_u64_e32 vcc, v[2:3], v[17:18]
	s_and_saveexec_b64 s[18:19], vcc
	s_cbranch_execz .LBB7_272
; %bb.270:
	s_mov_b64 s[20:21], 0
.LBB7_271:                              ; =>This Inner Loop Header: Depth=1
	s_sleep 1
	global_store_dwordx2 v[9:10], v[2:3], off
	v_mov_b32_e32 v0, s10
	v_mov_b32_e32 v1, s11
	s_waitcnt vmcnt(0)
	global_atomic_cmpswap_x2 v[0:1], v11, v[0:3], s[48:49] offset:32 glc
	s_waitcnt vmcnt(0)
	v_cmp_eq_u64_e32 vcc, v[0:1], v[2:3]
	v_mov_b32_e32 v3, v1
	s_or_b64 s[20:21], vcc, s[20:21]
	v_mov_b32_e32 v2, v0
	s_andn2_b64 exec, exec, s[20:21]
	s_cbranch_execnz .LBB7_271
.LBB7_272:
	s_or_b64 exec, exec, s[18:19]
	v_mov_b32_e32 v3, 0
	global_load_dwordx2 v[0:1], v3, s[48:49] offset:16
	s_mov_b64 s[18:19], exec
	v_mbcnt_lo_u32_b32 v2, s18, 0
	v_mbcnt_hi_u32_b32 v2, s19, v2
	v_cmp_eq_u32_e32 vcc, 0, v2
	s_and_saveexec_b64 s[20:21], vcc
	s_cbranch_execz .LBB7_274
; %bb.273:
	s_bcnt1_i32_b64 s15, s[18:19]
	v_mov_b32_e32 v2, s15
	s_waitcnt vmcnt(0)
	global_atomic_add_x2 v[0:1], v[2:3], off offset:8
.LBB7_274:
	s_or_b64 exec, exec, s[20:21]
	s_waitcnt vmcnt(0)
	global_load_dwordx2 v[2:3], v[0:1], off offset:16
	s_waitcnt vmcnt(0)
	v_cmp_eq_u64_e32 vcc, 0, v[2:3]
	s_cbranch_vccnz .LBB7_276
; %bb.275:
	global_load_dword v0, v[0:1], off offset:24
	v_mov_b32_e32 v1, 0
	s_waitcnt vmcnt(0)
	global_store_dwordx2 v[2:3], v[0:1], off
	v_and_b32_e32 v0, 0xffffff, v0
	v_readfirstlane_b32 m0, v0
	s_sendmsg sendmsg(MSG_INTERRUPT)
.LBB7_276:
	s_or_b64 exec, exec, s[16:17]
	s_branch .LBB7_280
.LBB7_277:                              ;   in Loop: Header=BB7_280 Depth=1
	s_or_b64 exec, exec, s[16:17]
	v_readfirstlane_b32 s15, v0
	s_cmp_eq_u32 s15, 0
	s_cbranch_scc1 .LBB7_279
; %bb.278:                              ;   in Loop: Header=BB7_280 Depth=1
	s_sleep 1
	s_cbranch_execnz .LBB7_280
	s_branch .LBB7_282
.LBB7_279:
	s_branch .LBB7_282
.LBB7_280:                              ; =>This Inner Loop Header: Depth=1
	v_mov_b32_e32 v0, 1
	s_and_saveexec_b64 s[16:17], s[4:5]
	s_cbranch_execz .LBB7_277
; %bb.281:                              ;   in Loop: Header=BB7_280 Depth=1
	global_load_dword v0, v[6:7], off offset:20 glc
	s_waitcnt vmcnt(0)
	buffer_wbinvl1_vol
	v_and_b32_e32 v0, 1, v0
	s_branch .LBB7_277
.LBB7_282:
	global_load_dwordx2 v[0:1], v[13:14], off
	s_and_saveexec_b64 s[16:17], s[4:5]
	s_cbranch_execz .LBB7_285
; %bb.283:
	v_mov_b32_e32 v6, 0
	global_load_dwordx2 v[2:3], v6, s[48:49] offset:40
	global_load_dwordx2 v[13:14], v6, s[48:49] offset:24 glc
	global_load_dwordx2 v[15:16], v6, s[48:49]
	v_mov_b32_e32 v7, s11
	s_mov_b64 s[4:5], 0
	s_waitcnt vmcnt(2)
	v_add_co_u32_e32 v11, vcc, 1, v2
	v_addc_co_u32_e32 v12, vcc, 0, v3, vcc
	v_add_co_u32_e32 v9, vcc, s10, v11
	v_addc_co_u32_e32 v10, vcc, v12, v7, vcc
	v_cmp_eq_u64_e32 vcc, 0, v[9:10]
	v_cndmask_b32_e32 v10, v10, v12, vcc
	v_cndmask_b32_e32 v9, v9, v11, vcc
	v_and_b32_e32 v3, v10, v3
	v_and_b32_e32 v2, v9, v2
	v_mul_lo_u32 v3, v3, 24
	v_mul_hi_u32 v7, v2, 24
	v_mul_lo_u32 v2, v2, 24
	s_waitcnt vmcnt(1)
	v_mov_b32_e32 v11, v13
	v_mov_b32_e32 v12, v14
	v_add_u32_e32 v3, v7, v3
	s_waitcnt vmcnt(0)
	v_add_co_u32_e32 v2, vcc, v15, v2
	v_addc_co_u32_e32 v3, vcc, v16, v3, vcc
	global_store_dwordx2 v[2:3], v[13:14], off
	s_waitcnt vmcnt(0)
	global_atomic_cmpswap_x2 v[11:12], v6, v[9:12], s[48:49] offset:24 glc
	s_waitcnt vmcnt(0)
	v_cmp_ne_u64_e32 vcc, v[11:12], v[13:14]
	s_and_b64 exec, exec, vcc
	s_cbranch_execz .LBB7_285
.LBB7_284:                              ; =>This Inner Loop Header: Depth=1
	s_sleep 1
	global_store_dwordx2 v[2:3], v[11:12], off
	s_waitcnt vmcnt(0)
	global_atomic_cmpswap_x2 v[13:14], v6, v[9:12], s[48:49] offset:24 glc
	s_waitcnt vmcnt(0)
	v_cmp_eq_u64_e32 vcc, v[13:14], v[11:12]
	v_mov_b32_e32 v11, v13
	s_or_b64 s[4:5], vcc, s[4:5]
	v_mov_b32_e32 v12, v14
	s_andn2_b64 exec, exec, s[4:5]
	s_cbranch_execnz .LBB7_284
.LBB7_285:
	s_or_b64 exec, exec, s[16:17]
	s_getpc_b64 s[10:11]
	s_add_u32 s10, s10, .str.6@rel32@lo+4
	s_addc_u32 s11, s11, .str.6@rel32@hi+12
	s_cmp_lg_u64 s[10:11], 0
	s_cselect_b64 s[50:51], -1, 0
	s_and_b64 vcc, exec, s[50:51]
	s_cbranch_vccz .LBB7_370
; %bb.286:
	s_waitcnt vmcnt(0)
	v_and_b32_e32 v35, 2, v0
	v_mov_b32_e32 v3, 0
	v_and_b32_e32 v9, -3, v0
	v_mov_b32_e32 v10, v1
	s_mov_b64 s[16:17], 3
	v_mov_b32_e32 v13, 2
	v_mov_b32_e32 v14, 1
	s_branch .LBB7_288
.LBB7_287:                              ;   in Loop: Header=BB7_288 Depth=1
	s_or_b64 exec, exec, s[22:23]
	s_sub_u32 s16, s16, s18
	s_subb_u32 s17, s17, s19
	s_add_u32 s10, s10, s18
	s_addc_u32 s11, s11, s19
	s_cmp_lg_u64 s[16:17], 0
	s_cbranch_scc0 .LBB7_369
.LBB7_288:                              ; =>This Loop Header: Depth=1
                                        ;     Child Loop BB7_291 Depth 2
                                        ;     Child Loop BB7_298 Depth 2
	;; [unrolled: 1-line block ×11, first 2 shown]
	v_cmp_lt_u64_e64 s[4:5], s[16:17], 56
	v_cmp_gt_u64_e64 s[20:21], s[16:17], 7
	s_and_b64 s[4:5], s[4:5], exec
	s_cselect_b32 s19, s17, 0
	s_cselect_b32 s18, s16, 56
	s_and_b64 vcc, exec, s[20:21]
	s_cbranch_vccnz .LBB7_293
; %bb.289:                              ;   in Loop: Header=BB7_288 Depth=1
	v_mov_b32_e32 v17, 0
	s_cmp_eq_u64 s[16:17], 0
	v_mov_b32_e32 v18, 0
	s_mov_b64 s[4:5], 0
	s_cbranch_scc1 .LBB7_292
; %bb.290:                              ;   in Loop: Header=BB7_288 Depth=1
	v_mov_b32_e32 v17, 0
	s_lshl_b64 s[20:21], s[18:19], 3
	s_mov_b64 s[22:23], 0
	v_mov_b32_e32 v18, 0
	s_mov_b64 s[24:25], s[10:11]
.LBB7_291:                              ;   Parent Loop BB7_288 Depth=1
                                        ; =>  This Inner Loop Header: Depth=2
	global_load_ubyte v2, v3, s[24:25]
	s_waitcnt vmcnt(0)
	v_and_b32_e32 v2, 0xffff, v2
	v_lshlrev_b64 v[6:7], s22, v[2:3]
	s_add_u32 s22, s22, 8
	s_addc_u32 s23, s23, 0
	s_add_u32 s24, s24, 1
	s_addc_u32 s25, s25, 0
	v_or_b32_e32 v17, v6, v17
	s_cmp_lg_u32 s20, s22
	v_or_b32_e32 v18, v7, v18
	s_cbranch_scc1 .LBB7_291
.LBB7_292:                              ;   in Loop: Header=BB7_288 Depth=1
	s_mov_b32 s15, 0
	s_andn2_b64 vcc, exec, s[4:5]
	s_mov_b64 s[4:5], s[10:11]
	s_cbranch_vccz .LBB7_294
	s_branch .LBB7_295
.LBB7_293:                              ;   in Loop: Header=BB7_288 Depth=1
                                        ; implicit-def: $vgpr17_vgpr18
                                        ; implicit-def: $sgpr15
	s_mov_b64 s[4:5], s[10:11]
.LBB7_294:                              ;   in Loop: Header=BB7_288 Depth=1
	global_load_dwordx2 v[17:18], v3, s[10:11]
	s_add_i32 s15, s18, -8
	s_add_u32 s4, s10, 8
	s_addc_u32 s5, s11, 0
.LBB7_295:                              ;   in Loop: Header=BB7_288 Depth=1
	s_cmp_gt_u32 s15, 7
	s_cbranch_scc1 .LBB7_299
; %bb.296:                              ;   in Loop: Header=BB7_288 Depth=1
	s_cmp_eq_u32 s15, 0
	s_cbranch_scc1 .LBB7_300
; %bb.297:                              ;   in Loop: Header=BB7_288 Depth=1
	v_mov_b32_e32 v19, 0
	s_mov_b64 s[20:21], 0
	v_mov_b32_e32 v20, 0
	s_mov_b64 s[22:23], 0
.LBB7_298:                              ;   Parent Loop BB7_288 Depth=1
                                        ; =>  This Inner Loop Header: Depth=2
	s_add_u32 s24, s4, s22
	s_addc_u32 s25, s5, s23
	global_load_ubyte v2, v3, s[24:25]
	s_add_u32 s22, s22, 1
	s_addc_u32 s23, s23, 0
	s_waitcnt vmcnt(0)
	v_and_b32_e32 v2, 0xffff, v2
	v_lshlrev_b64 v[6:7], s20, v[2:3]
	s_add_u32 s20, s20, 8
	s_addc_u32 s21, s21, 0
	v_or_b32_e32 v19, v6, v19
	s_cmp_lg_u32 s15, s22
	v_or_b32_e32 v20, v7, v20
	s_cbranch_scc1 .LBB7_298
	s_branch .LBB7_301
.LBB7_299:                              ;   in Loop: Header=BB7_288 Depth=1
                                        ; implicit-def: $vgpr19_vgpr20
                                        ; implicit-def: $sgpr24
	s_branch .LBB7_302
.LBB7_300:                              ;   in Loop: Header=BB7_288 Depth=1
	v_mov_b32_e32 v19, 0
	v_mov_b32_e32 v20, 0
.LBB7_301:                              ;   in Loop: Header=BB7_288 Depth=1
	s_mov_b32 s24, 0
	s_cbranch_execnz .LBB7_303
.LBB7_302:                              ;   in Loop: Header=BB7_288 Depth=1
	global_load_dwordx2 v[19:20], v3, s[4:5]
	s_add_i32 s24, s15, -8
	s_add_u32 s4, s4, 8
	s_addc_u32 s5, s5, 0
.LBB7_303:                              ;   in Loop: Header=BB7_288 Depth=1
	s_cmp_gt_u32 s24, 7
	s_cbranch_scc1 .LBB7_307
; %bb.304:                              ;   in Loop: Header=BB7_288 Depth=1
	s_cmp_eq_u32 s24, 0
	s_cbranch_scc1 .LBB7_308
; %bb.305:                              ;   in Loop: Header=BB7_288 Depth=1
	v_mov_b32_e32 v21, 0
	s_mov_b64 s[20:21], 0
	v_mov_b32_e32 v22, 0
	s_mov_b64 s[22:23], 0
.LBB7_306:                              ;   Parent Loop BB7_288 Depth=1
                                        ; =>  This Inner Loop Header: Depth=2
	s_add_u32 s26, s4, s22
	s_addc_u32 s27, s5, s23
	global_load_ubyte v2, v3, s[26:27]
	s_add_u32 s22, s22, 1
	s_addc_u32 s23, s23, 0
	s_waitcnt vmcnt(0)
	v_and_b32_e32 v2, 0xffff, v2
	v_lshlrev_b64 v[6:7], s20, v[2:3]
	s_add_u32 s20, s20, 8
	s_addc_u32 s21, s21, 0
	v_or_b32_e32 v21, v6, v21
	s_cmp_lg_u32 s24, s22
	v_or_b32_e32 v22, v7, v22
	s_cbranch_scc1 .LBB7_306
	s_branch .LBB7_309
.LBB7_307:                              ;   in Loop: Header=BB7_288 Depth=1
                                        ; implicit-def: $sgpr15
	s_branch .LBB7_310
.LBB7_308:                              ;   in Loop: Header=BB7_288 Depth=1
	v_mov_b32_e32 v21, 0
	v_mov_b32_e32 v22, 0
.LBB7_309:                              ;   in Loop: Header=BB7_288 Depth=1
	s_mov_b32 s15, 0
	s_cbranch_execnz .LBB7_311
.LBB7_310:                              ;   in Loop: Header=BB7_288 Depth=1
	global_load_dwordx2 v[21:22], v3, s[4:5]
	s_add_i32 s15, s24, -8
	s_add_u32 s4, s4, 8
	s_addc_u32 s5, s5, 0
.LBB7_311:                              ;   in Loop: Header=BB7_288 Depth=1
	s_cmp_gt_u32 s15, 7
	s_cbranch_scc1 .LBB7_315
; %bb.312:                              ;   in Loop: Header=BB7_288 Depth=1
	s_cmp_eq_u32 s15, 0
	s_cbranch_scc1 .LBB7_316
; %bb.313:                              ;   in Loop: Header=BB7_288 Depth=1
	v_mov_b32_e32 v23, 0
	s_mov_b64 s[20:21], 0
	v_mov_b32_e32 v24, 0
	s_mov_b64 s[22:23], 0
.LBB7_314:                              ;   Parent Loop BB7_288 Depth=1
                                        ; =>  This Inner Loop Header: Depth=2
	s_add_u32 s24, s4, s22
	s_addc_u32 s25, s5, s23
	global_load_ubyte v2, v3, s[24:25]
	s_add_u32 s22, s22, 1
	s_addc_u32 s23, s23, 0
	s_waitcnt vmcnt(0)
	v_and_b32_e32 v2, 0xffff, v2
	v_lshlrev_b64 v[6:7], s20, v[2:3]
	s_add_u32 s20, s20, 8
	s_addc_u32 s21, s21, 0
	v_or_b32_e32 v23, v6, v23
	s_cmp_lg_u32 s15, s22
	v_or_b32_e32 v24, v7, v24
	s_cbranch_scc1 .LBB7_314
	s_branch .LBB7_317
.LBB7_315:                              ;   in Loop: Header=BB7_288 Depth=1
                                        ; implicit-def: $vgpr23_vgpr24
                                        ; implicit-def: $sgpr24
	s_branch .LBB7_318
.LBB7_316:                              ;   in Loop: Header=BB7_288 Depth=1
	v_mov_b32_e32 v23, 0
	v_mov_b32_e32 v24, 0
.LBB7_317:                              ;   in Loop: Header=BB7_288 Depth=1
	s_mov_b32 s24, 0
	s_cbranch_execnz .LBB7_319
.LBB7_318:                              ;   in Loop: Header=BB7_288 Depth=1
	global_load_dwordx2 v[23:24], v3, s[4:5]
	s_add_i32 s24, s15, -8
	s_add_u32 s4, s4, 8
	s_addc_u32 s5, s5, 0
.LBB7_319:                              ;   in Loop: Header=BB7_288 Depth=1
	s_cmp_gt_u32 s24, 7
	s_cbranch_scc1 .LBB7_323
; %bb.320:                              ;   in Loop: Header=BB7_288 Depth=1
	s_cmp_eq_u32 s24, 0
	s_cbranch_scc1 .LBB7_324
; %bb.321:                              ;   in Loop: Header=BB7_288 Depth=1
	v_mov_b32_e32 v25, 0
	s_mov_b64 s[20:21], 0
	v_mov_b32_e32 v26, 0
	s_mov_b64 s[22:23], 0
.LBB7_322:                              ;   Parent Loop BB7_288 Depth=1
                                        ; =>  This Inner Loop Header: Depth=2
	s_add_u32 s26, s4, s22
	s_addc_u32 s27, s5, s23
	global_load_ubyte v2, v3, s[26:27]
	s_add_u32 s22, s22, 1
	s_addc_u32 s23, s23, 0
	s_waitcnt vmcnt(0)
	v_and_b32_e32 v2, 0xffff, v2
	v_lshlrev_b64 v[6:7], s20, v[2:3]
	s_add_u32 s20, s20, 8
	s_addc_u32 s21, s21, 0
	v_or_b32_e32 v25, v6, v25
	s_cmp_lg_u32 s24, s22
	v_or_b32_e32 v26, v7, v26
	s_cbranch_scc1 .LBB7_322
	s_branch .LBB7_325
.LBB7_323:                              ;   in Loop: Header=BB7_288 Depth=1
                                        ; implicit-def: $sgpr15
	s_branch .LBB7_326
.LBB7_324:                              ;   in Loop: Header=BB7_288 Depth=1
	v_mov_b32_e32 v25, 0
	v_mov_b32_e32 v26, 0
.LBB7_325:                              ;   in Loop: Header=BB7_288 Depth=1
	s_mov_b32 s15, 0
	s_cbranch_execnz .LBB7_327
.LBB7_326:                              ;   in Loop: Header=BB7_288 Depth=1
	global_load_dwordx2 v[25:26], v3, s[4:5]
	s_add_i32 s15, s24, -8
	s_add_u32 s4, s4, 8
	s_addc_u32 s5, s5, 0
.LBB7_327:                              ;   in Loop: Header=BB7_288 Depth=1
	s_cmp_gt_u32 s15, 7
	s_cbranch_scc1 .LBB7_331
; %bb.328:                              ;   in Loop: Header=BB7_288 Depth=1
	s_cmp_eq_u32 s15, 0
	s_cbranch_scc1 .LBB7_332
; %bb.329:                              ;   in Loop: Header=BB7_288 Depth=1
	v_mov_b32_e32 v27, 0
	s_mov_b64 s[20:21], 0
	v_mov_b32_e32 v28, 0
	s_mov_b64 s[22:23], 0
.LBB7_330:                              ;   Parent Loop BB7_288 Depth=1
                                        ; =>  This Inner Loop Header: Depth=2
	s_add_u32 s24, s4, s22
	s_addc_u32 s25, s5, s23
	global_load_ubyte v2, v3, s[24:25]
	s_add_u32 s22, s22, 1
	s_addc_u32 s23, s23, 0
	s_waitcnt vmcnt(0)
	v_and_b32_e32 v2, 0xffff, v2
	v_lshlrev_b64 v[6:7], s20, v[2:3]
	s_add_u32 s20, s20, 8
	s_addc_u32 s21, s21, 0
	v_or_b32_e32 v27, v6, v27
	s_cmp_lg_u32 s15, s22
	v_or_b32_e32 v28, v7, v28
	s_cbranch_scc1 .LBB7_330
	s_branch .LBB7_333
.LBB7_331:                              ;   in Loop: Header=BB7_288 Depth=1
                                        ; implicit-def: $vgpr27_vgpr28
                                        ; implicit-def: $sgpr24
	s_branch .LBB7_334
.LBB7_332:                              ;   in Loop: Header=BB7_288 Depth=1
	v_mov_b32_e32 v27, 0
	v_mov_b32_e32 v28, 0
.LBB7_333:                              ;   in Loop: Header=BB7_288 Depth=1
	s_mov_b32 s24, 0
	s_cbranch_execnz .LBB7_335
.LBB7_334:                              ;   in Loop: Header=BB7_288 Depth=1
	global_load_dwordx2 v[27:28], v3, s[4:5]
	s_add_i32 s24, s15, -8
	s_add_u32 s4, s4, 8
	s_addc_u32 s5, s5, 0
.LBB7_335:                              ;   in Loop: Header=BB7_288 Depth=1
	s_cmp_gt_u32 s24, 7
	s_cbranch_scc1 .LBB7_339
; %bb.336:                              ;   in Loop: Header=BB7_288 Depth=1
	s_cmp_eq_u32 s24, 0
	s_cbranch_scc1 .LBB7_340
; %bb.337:                              ;   in Loop: Header=BB7_288 Depth=1
	v_mov_b32_e32 v29, 0
	s_mov_b64 s[20:21], 0
	v_mov_b32_e32 v30, 0
	s_mov_b64 s[22:23], s[4:5]
.LBB7_338:                              ;   Parent Loop BB7_288 Depth=1
                                        ; =>  This Inner Loop Header: Depth=2
	global_load_ubyte v2, v3, s[22:23]
	s_add_i32 s24, s24, -1
	s_waitcnt vmcnt(0)
	v_and_b32_e32 v2, 0xffff, v2
	v_lshlrev_b64 v[6:7], s20, v[2:3]
	s_add_u32 s20, s20, 8
	s_addc_u32 s21, s21, 0
	s_add_u32 s22, s22, 1
	s_addc_u32 s23, s23, 0
	v_or_b32_e32 v29, v6, v29
	s_cmp_lg_u32 s24, 0
	v_or_b32_e32 v30, v7, v30
	s_cbranch_scc1 .LBB7_338
	s_branch .LBB7_341
.LBB7_339:                              ;   in Loop: Header=BB7_288 Depth=1
	s_branch .LBB7_342
.LBB7_340:                              ;   in Loop: Header=BB7_288 Depth=1
	v_mov_b32_e32 v29, 0
	v_mov_b32_e32 v30, 0
.LBB7_341:                              ;   in Loop: Header=BB7_288 Depth=1
	s_cbranch_execnz .LBB7_343
.LBB7_342:                              ;   in Loop: Header=BB7_288 Depth=1
	global_load_dwordx2 v[29:30], v3, s[4:5]
.LBB7_343:                              ;   in Loop: Header=BB7_288 Depth=1
	v_readfirstlane_b32 s4, v44
	v_mov_b32_e32 v6, 0
	v_mov_b32_e32 v7, 0
	v_cmp_eq_u32_e64 s[4:5], s4, v44
	s_and_saveexec_b64 s[20:21], s[4:5]
	s_cbranch_execz .LBB7_349
; %bb.344:                              ;   in Loop: Header=BB7_288 Depth=1
	global_load_dwordx2 v[33:34], v3, s[48:49] offset:24 glc
	s_waitcnt vmcnt(0)
	buffer_wbinvl1_vol
	global_load_dwordx2 v[6:7], v3, s[48:49] offset:40
	global_load_dwordx2 v[11:12], v3, s[48:49]
	s_waitcnt vmcnt(1)
	v_and_b32_e32 v2, v6, v33
	v_and_b32_e32 v6, v7, v34
	v_mul_lo_u32 v6, v6, 24
	v_mul_hi_u32 v7, v2, 24
	v_mul_lo_u32 v2, v2, 24
	v_add_u32_e32 v7, v7, v6
	s_waitcnt vmcnt(0)
	v_add_co_u32_e32 v6, vcc, v11, v2
	v_addc_co_u32_e32 v7, vcc, v12, v7, vcc
	global_load_dwordx2 v[31:32], v[6:7], off glc
	s_waitcnt vmcnt(0)
	global_atomic_cmpswap_x2 v[6:7], v3, v[31:34], s[48:49] offset:24 glc
	s_waitcnt vmcnt(0)
	buffer_wbinvl1_vol
	v_cmp_ne_u64_e32 vcc, v[6:7], v[33:34]
	s_and_saveexec_b64 s[22:23], vcc
	s_cbranch_execz .LBB7_348
; %bb.345:                              ;   in Loop: Header=BB7_288 Depth=1
	s_mov_b64 s[24:25], 0
.LBB7_346:                              ;   Parent Loop BB7_288 Depth=1
                                        ; =>  This Inner Loop Header: Depth=2
	s_sleep 1
	global_load_dwordx2 v[11:12], v3, s[48:49] offset:40
	global_load_dwordx2 v[15:16], v3, s[48:49]
	v_mov_b32_e32 v34, v7
	v_mov_b32_e32 v33, v6
	s_waitcnt vmcnt(1)
	v_and_b32_e32 v2, v11, v33
	s_waitcnt vmcnt(0)
	v_mad_u64_u32 v[6:7], s[26:27], v2, 24, v[15:16]
	v_and_b32_e32 v11, v12, v34
	v_mov_b32_e32 v2, v7
	v_mad_u64_u32 v[11:12], s[26:27], v11, 24, v[2:3]
	v_mov_b32_e32 v7, v11
	global_load_dwordx2 v[31:32], v[6:7], off glc
	s_waitcnt vmcnt(0)
	global_atomic_cmpswap_x2 v[6:7], v3, v[31:34], s[48:49] offset:24 glc
	s_waitcnt vmcnt(0)
	buffer_wbinvl1_vol
	v_cmp_eq_u64_e32 vcc, v[6:7], v[33:34]
	s_or_b64 s[24:25], vcc, s[24:25]
	s_andn2_b64 exec, exec, s[24:25]
	s_cbranch_execnz .LBB7_346
; %bb.347:                              ;   in Loop: Header=BB7_288 Depth=1
	s_or_b64 exec, exec, s[24:25]
.LBB7_348:                              ;   in Loop: Header=BB7_288 Depth=1
	s_or_b64 exec, exec, s[22:23]
.LBB7_349:                              ;   in Loop: Header=BB7_288 Depth=1
	s_or_b64 exec, exec, s[20:21]
	global_load_dwordx2 v[11:12], v3, s[48:49] offset:40
	global_load_dwordx4 v[31:34], v3, s[48:49]
	v_readfirstlane_b32 s20, v6
	v_readfirstlane_b32 s21, v7
	s_mov_b64 s[22:23], exec
	s_waitcnt vmcnt(1)
	v_readfirstlane_b32 s24, v11
	v_readfirstlane_b32 s25, v12
	s_and_b64 s[24:25], s[20:21], s[24:25]
	s_mul_i32 s15, s25, 24
	s_mul_hi_u32 s26, s24, 24
	s_mul_i32 s27, s24, 24
	s_add_i32 s15, s26, s15
	v_mov_b32_e32 v2, s15
	s_waitcnt vmcnt(0)
	v_add_co_u32_e32 v6, vcc, s27, v31
	v_addc_co_u32_e32 v7, vcc, v32, v2, vcc
	s_and_saveexec_b64 s[26:27], s[4:5]
	s_cbranch_execz .LBB7_351
; %bb.350:                              ;   in Loop: Header=BB7_288 Depth=1
	v_mov_b32_e32 v11, s22
	v_mov_b32_e32 v12, s23
	global_store_dwordx4 v[6:7], v[11:14], off offset:8
.LBB7_351:                              ;   in Loop: Header=BB7_288 Depth=1
	s_or_b64 exec, exec, s[26:27]
	s_lshl_b64 s[22:23], s[24:25], 12
	v_mov_b32_e32 v2, s23
	v_add_co_u32_e32 v33, vcc, s22, v33
	v_addc_co_u32_e32 v34, vcc, v34, v2, vcc
	v_cmp_gt_u64_e64 vcc, s[16:17], 56
	v_or_b32_e32 v2, 0, v10
	v_or_b32_e32 v11, v9, v35
	s_lshl_b32 s15, s18, 2
	v_cndmask_b32_e32 v16, v2, v10, vcc
	v_cndmask_b32_e32 v2, v11, v9, vcc
	s_add_i32 s15, s15, 28
	s_and_b32 s15, s15, 0x1e0
	v_and_b32_e32 v2, 0xffffff1f, v2
	v_or_b32_e32 v15, s15, v2
	v_readfirstlane_b32 s22, v33
	v_readfirstlane_b32 s23, v34
	s_nop 4
	global_store_dwordx4 v40, v[15:18], s[22:23]
	global_store_dwordx4 v40, v[19:22], s[22:23] offset:16
	global_store_dwordx4 v40, v[23:26], s[22:23] offset:32
	;; [unrolled: 1-line block ×3, first 2 shown]
	s_and_saveexec_b64 s[22:23], s[4:5]
	s_cbranch_execz .LBB7_359
; %bb.352:                              ;   in Loop: Header=BB7_288 Depth=1
	global_load_dwordx2 v[19:20], v3, s[48:49] offset:32 glc
	global_load_dwordx2 v[9:10], v3, s[48:49] offset:40
	v_mov_b32_e32 v17, s20
	v_mov_b32_e32 v18, s21
	s_waitcnt vmcnt(0)
	v_readfirstlane_b32 s24, v9
	v_readfirstlane_b32 s25, v10
	s_and_b64 s[24:25], s[24:25], s[20:21]
	s_mul_i32 s15, s25, 24
	s_mul_hi_u32 s25, s24, 24
	s_mul_i32 s24, s24, 24
	s_add_i32 s15, s25, s15
	v_mov_b32_e32 v2, s15
	v_add_co_u32_e32 v15, vcc, s24, v31
	v_addc_co_u32_e32 v16, vcc, v32, v2, vcc
	global_store_dwordx2 v[15:16], v[19:20], off
	s_waitcnt vmcnt(0)
	global_atomic_cmpswap_x2 v[11:12], v3, v[17:20], s[48:49] offset:32 glc
	s_waitcnt vmcnt(0)
	v_cmp_ne_u64_e32 vcc, v[11:12], v[19:20]
	s_and_saveexec_b64 s[24:25], vcc
	s_cbranch_execz .LBB7_355
; %bb.353:                              ;   in Loop: Header=BB7_288 Depth=1
	s_mov_b64 s[26:27], 0
.LBB7_354:                              ;   Parent Loop BB7_288 Depth=1
                                        ; =>  This Inner Loop Header: Depth=2
	s_sleep 1
	global_store_dwordx2 v[15:16], v[11:12], off
	v_mov_b32_e32 v9, s20
	v_mov_b32_e32 v10, s21
	s_waitcnt vmcnt(0)
	global_atomic_cmpswap_x2 v[9:10], v3, v[9:12], s[48:49] offset:32 glc
	s_waitcnt vmcnt(0)
	v_cmp_eq_u64_e32 vcc, v[9:10], v[11:12]
	v_mov_b32_e32 v12, v10
	s_or_b64 s[26:27], vcc, s[26:27]
	v_mov_b32_e32 v11, v9
	s_andn2_b64 exec, exec, s[26:27]
	s_cbranch_execnz .LBB7_354
.LBB7_355:                              ;   in Loop: Header=BB7_288 Depth=1
	s_or_b64 exec, exec, s[24:25]
	global_load_dwordx2 v[9:10], v3, s[48:49] offset:16
	s_mov_b64 s[26:27], exec
	v_mbcnt_lo_u32_b32 v2, s26, 0
	v_mbcnt_hi_u32_b32 v2, s27, v2
	v_cmp_eq_u32_e32 vcc, 0, v2
	s_and_saveexec_b64 s[24:25], vcc
	s_cbranch_execz .LBB7_357
; %bb.356:                              ;   in Loop: Header=BB7_288 Depth=1
	s_bcnt1_i32_b64 s15, s[26:27]
	v_mov_b32_e32 v2, s15
	s_waitcnt vmcnt(0)
	global_atomic_add_x2 v[9:10], v[2:3], off offset:8
.LBB7_357:                              ;   in Loop: Header=BB7_288 Depth=1
	s_or_b64 exec, exec, s[24:25]
	s_waitcnt vmcnt(0)
	global_load_dwordx2 v[11:12], v[9:10], off offset:16
	s_waitcnt vmcnt(0)
	v_cmp_eq_u64_e32 vcc, 0, v[11:12]
	s_cbranch_vccnz .LBB7_359
; %bb.358:                              ;   in Loop: Header=BB7_288 Depth=1
	global_load_dword v2, v[9:10], off offset:24
	s_waitcnt vmcnt(0)
	global_store_dwordx2 v[11:12], v[2:3], off
	v_and_b32_e32 v2, 0xffffff, v2
	v_readfirstlane_b32 m0, v2
	s_sendmsg sendmsg(MSG_INTERRUPT)
.LBB7_359:                              ;   in Loop: Header=BB7_288 Depth=1
	s_or_b64 exec, exec, s[22:23]
	v_add_co_u32_e32 v9, vcc, v33, v40
	v_addc_co_u32_e32 v10, vcc, 0, v34, vcc
	s_branch .LBB7_363
.LBB7_360:                              ;   in Loop: Header=BB7_363 Depth=2
	s_or_b64 exec, exec, s[22:23]
	v_readfirstlane_b32 s15, v2
	s_cmp_eq_u32 s15, 0
	s_cbranch_scc1 .LBB7_362
; %bb.361:                              ;   in Loop: Header=BB7_363 Depth=2
	s_sleep 1
	s_cbranch_execnz .LBB7_363
	s_branch .LBB7_365
.LBB7_362:                              ;   in Loop: Header=BB7_288 Depth=1
	s_branch .LBB7_365
.LBB7_363:                              ;   Parent Loop BB7_288 Depth=1
                                        ; =>  This Inner Loop Header: Depth=2
	v_mov_b32_e32 v2, 1
	s_and_saveexec_b64 s[22:23], s[4:5]
	s_cbranch_execz .LBB7_360
; %bb.364:                              ;   in Loop: Header=BB7_363 Depth=2
	global_load_dword v2, v[6:7], off offset:20 glc
	s_waitcnt vmcnt(0)
	buffer_wbinvl1_vol
	v_and_b32_e32 v2, 1, v2
	s_branch .LBB7_360
.LBB7_365:                              ;   in Loop: Header=BB7_288 Depth=1
	global_load_dwordx4 v[9:12], v[9:10], off
	s_and_saveexec_b64 s[22:23], s[4:5]
	s_cbranch_execz .LBB7_287
; %bb.366:                              ;   in Loop: Header=BB7_288 Depth=1
	global_load_dwordx2 v[6:7], v3, s[48:49] offset:40
	global_load_dwordx2 v[11:12], v3, s[48:49] offset:24 glc
	global_load_dwordx2 v[18:19], v3, s[48:49]
	v_mov_b32_e32 v2, s21
	s_waitcnt vmcnt(2)
	v_add_co_u32_e32 v17, vcc, 1, v6
	v_addc_co_u32_e32 v20, vcc, 0, v7, vcc
	v_add_co_u32_e32 v15, vcc, s20, v17
	v_addc_co_u32_e32 v16, vcc, v20, v2, vcc
	v_cmp_eq_u64_e32 vcc, 0, v[15:16]
	v_cndmask_b32_e32 v16, v16, v20, vcc
	v_cndmask_b32_e32 v15, v15, v17, vcc
	v_and_b32_e32 v2, v16, v7
	v_and_b32_e32 v6, v15, v6
	v_mul_lo_u32 v2, v2, 24
	v_mul_hi_u32 v7, v6, 24
	v_mul_lo_u32 v6, v6, 24
	s_waitcnt vmcnt(1)
	v_mov_b32_e32 v17, v11
	v_add_u32_e32 v2, v7, v2
	s_waitcnt vmcnt(0)
	v_add_co_u32_e32 v6, vcc, v18, v6
	v_addc_co_u32_e32 v7, vcc, v19, v2, vcc
	global_store_dwordx2 v[6:7], v[11:12], off
	v_mov_b32_e32 v18, v12
	s_waitcnt vmcnt(0)
	global_atomic_cmpswap_x2 v[17:18], v3, v[15:18], s[48:49] offset:24 glc
	s_waitcnt vmcnt(0)
	v_cmp_ne_u64_e32 vcc, v[17:18], v[11:12]
	s_and_b64 exec, exec, vcc
	s_cbranch_execz .LBB7_287
; %bb.367:                              ;   in Loop: Header=BB7_288 Depth=1
	s_mov_b64 s[4:5], 0
.LBB7_368:                              ;   Parent Loop BB7_288 Depth=1
                                        ; =>  This Inner Loop Header: Depth=2
	s_sleep 1
	global_store_dwordx2 v[6:7], v[17:18], off
	s_waitcnt vmcnt(0)
	global_atomic_cmpswap_x2 v[11:12], v3, v[15:18], s[48:49] offset:24 glc
	s_waitcnt vmcnt(0)
	v_cmp_eq_u64_e32 vcc, v[11:12], v[17:18]
	v_mov_b32_e32 v18, v12
	s_or_b64 s[4:5], vcc, s[4:5]
	v_mov_b32_e32 v17, v11
	s_andn2_b64 exec, exec, s[4:5]
	s_cbranch_execnz .LBB7_368
	s_branch .LBB7_287
.LBB7_369:
	s_branch .LBB7_397
.LBB7_370:
                                        ; implicit-def: $vgpr9_vgpr10
	s_cbranch_execz .LBB7_397
; %bb.371:
	v_readfirstlane_b32 s4, v44
	v_mov_b32_e32 v6, 0
	v_mov_b32_e32 v7, 0
	v_cmp_eq_u32_e64 s[4:5], s4, v44
	s_and_saveexec_b64 s[10:11], s[4:5]
	s_cbranch_execz .LBB7_377
; %bb.372:
	v_mov_b32_e32 v2, 0
	global_load_dwordx2 v[11:12], v2, s[48:49] offset:24 glc
	s_waitcnt vmcnt(0)
	buffer_wbinvl1_vol
	global_load_dwordx2 v[6:7], v2, s[48:49] offset:40
	global_load_dwordx2 v[9:10], v2, s[48:49]
	s_waitcnt vmcnt(1)
	v_and_b32_e32 v3, v6, v11
	v_and_b32_e32 v6, v7, v12
	v_mul_lo_u32 v6, v6, 24
	v_mul_hi_u32 v7, v3, 24
	v_mul_lo_u32 v3, v3, 24
	v_add_u32_e32 v7, v7, v6
	s_waitcnt vmcnt(0)
	v_add_co_u32_e32 v6, vcc, v9, v3
	v_addc_co_u32_e32 v7, vcc, v10, v7, vcc
	global_load_dwordx2 v[9:10], v[6:7], off glc
	s_waitcnt vmcnt(0)
	global_atomic_cmpswap_x2 v[6:7], v2, v[9:12], s[48:49] offset:24 glc
	s_waitcnt vmcnt(0)
	buffer_wbinvl1_vol
	v_cmp_ne_u64_e32 vcc, v[6:7], v[11:12]
	s_and_saveexec_b64 s[16:17], vcc
	s_cbranch_execz .LBB7_376
; %bb.373:
	s_mov_b64 s[18:19], 0
.LBB7_374:                              ; =>This Inner Loop Header: Depth=1
	s_sleep 1
	global_load_dwordx2 v[9:10], v2, s[48:49] offset:40
	global_load_dwordx2 v[13:14], v2, s[48:49]
	v_mov_b32_e32 v12, v7
	v_mov_b32_e32 v11, v6
	s_waitcnt vmcnt(1)
	v_and_b32_e32 v3, v9, v11
	s_waitcnt vmcnt(0)
	v_mad_u64_u32 v[6:7], s[20:21], v3, 24, v[13:14]
	v_and_b32_e32 v9, v10, v12
	v_mov_b32_e32 v3, v7
	v_mad_u64_u32 v[9:10], s[20:21], v9, 24, v[3:4]
	v_mov_b32_e32 v7, v9
	global_load_dwordx2 v[9:10], v[6:7], off glc
	s_waitcnt vmcnt(0)
	global_atomic_cmpswap_x2 v[6:7], v2, v[9:12], s[48:49] offset:24 glc
	s_waitcnt vmcnt(0)
	buffer_wbinvl1_vol
	v_cmp_eq_u64_e32 vcc, v[6:7], v[11:12]
	s_or_b64 s[18:19], vcc, s[18:19]
	s_andn2_b64 exec, exec, s[18:19]
	s_cbranch_execnz .LBB7_374
; %bb.375:
	s_or_b64 exec, exec, s[18:19]
.LBB7_376:
	s_or_b64 exec, exec, s[16:17]
.LBB7_377:
	s_or_b64 exec, exec, s[10:11]
	v_mov_b32_e32 v2, 0
	global_load_dwordx2 v[13:14], v2, s[48:49] offset:40
	global_load_dwordx4 v[9:12], v2, s[48:49]
	v_readfirstlane_b32 s10, v6
	v_readfirstlane_b32 s11, v7
	s_mov_b64 s[16:17], exec
	s_waitcnt vmcnt(1)
	v_readfirstlane_b32 s18, v13
	v_readfirstlane_b32 s19, v14
	s_and_b64 s[18:19], s[10:11], s[18:19]
	s_mul_i32 s15, s19, 24
	s_mul_hi_u32 s20, s18, 24
	s_mul_i32 s21, s18, 24
	s_add_i32 s15, s20, s15
	v_mov_b32_e32 v3, s15
	s_waitcnt vmcnt(0)
	v_add_co_u32_e32 v6, vcc, s21, v9
	v_addc_co_u32_e32 v7, vcc, v10, v3, vcc
	s_and_saveexec_b64 s[20:21], s[4:5]
	s_cbranch_execz .LBB7_379
; %bb.378:
	v_mov_b32_e32 v13, s16
	v_mov_b32_e32 v14, s17
	;; [unrolled: 1-line block ×4, first 2 shown]
	global_store_dwordx4 v[6:7], v[13:16], off offset:8
.LBB7_379:
	s_or_b64 exec, exec, s[20:21]
	s_lshl_b64 s[16:17], s[18:19], 12
	v_mov_b32_e32 v3, s17
	v_add_co_u32_e32 v13, vcc, s16, v11
	v_addc_co_u32_e32 v14, vcc, v12, v3, vcc
	s_movk_i32 s15, 0xff1f
	v_and_or_b32 v0, v0, s15, 32
	s_mov_b32 s16, 0
	v_mov_b32_e32 v3, v2
	v_readfirstlane_b32 s20, v13
	v_readfirstlane_b32 s21, v14
	v_add_co_u32_e32 v11, vcc, v13, v40
	s_mov_b32 s17, s16
	s_mov_b32 s18, s16
	;; [unrolled: 1-line block ×3, first 2 shown]
	s_nop 0
	global_store_dwordx4 v40, v[0:3], s[20:21]
	v_addc_co_u32_e32 v12, vcc, 0, v14, vcc
	v_mov_b32_e32 v0, s16
	v_mov_b32_e32 v1, s17
	;; [unrolled: 1-line block ×4, first 2 shown]
	global_store_dwordx4 v40, v[0:3], s[20:21] offset:16
	global_store_dwordx4 v40, v[0:3], s[20:21] offset:32
	;; [unrolled: 1-line block ×3, first 2 shown]
	s_and_saveexec_b64 s[16:17], s[4:5]
	s_cbranch_execz .LBB7_387
; %bb.380:
	v_mov_b32_e32 v13, 0
	global_load_dwordx2 v[16:17], v13, s[48:49] offset:32 glc
	global_load_dwordx2 v[0:1], v13, s[48:49] offset:40
	v_mov_b32_e32 v14, s10
	v_mov_b32_e32 v15, s11
	s_waitcnt vmcnt(0)
	v_readfirstlane_b32 s18, v0
	v_readfirstlane_b32 s19, v1
	s_and_b64 s[18:19], s[18:19], s[10:11]
	s_mul_i32 s15, s19, 24
	s_mul_hi_u32 s19, s18, 24
	s_mul_i32 s18, s18, 24
	s_add_i32 s15, s19, s15
	v_mov_b32_e32 v0, s15
	v_add_co_u32_e32 v9, vcc, s18, v9
	v_addc_co_u32_e32 v10, vcc, v10, v0, vcc
	global_store_dwordx2 v[9:10], v[16:17], off
	s_waitcnt vmcnt(0)
	global_atomic_cmpswap_x2 v[2:3], v13, v[14:17], s[48:49] offset:32 glc
	s_waitcnt vmcnt(0)
	v_cmp_ne_u64_e32 vcc, v[2:3], v[16:17]
	s_and_saveexec_b64 s[18:19], vcc
	s_cbranch_execz .LBB7_383
; %bb.381:
	s_mov_b64 s[20:21], 0
.LBB7_382:                              ; =>This Inner Loop Header: Depth=1
	s_sleep 1
	global_store_dwordx2 v[9:10], v[2:3], off
	v_mov_b32_e32 v0, s10
	v_mov_b32_e32 v1, s11
	s_waitcnt vmcnt(0)
	global_atomic_cmpswap_x2 v[0:1], v13, v[0:3], s[48:49] offset:32 glc
	s_waitcnt vmcnt(0)
	v_cmp_eq_u64_e32 vcc, v[0:1], v[2:3]
	v_mov_b32_e32 v3, v1
	s_or_b64 s[20:21], vcc, s[20:21]
	v_mov_b32_e32 v2, v0
	s_andn2_b64 exec, exec, s[20:21]
	s_cbranch_execnz .LBB7_382
.LBB7_383:
	s_or_b64 exec, exec, s[18:19]
	v_mov_b32_e32 v3, 0
	global_load_dwordx2 v[0:1], v3, s[48:49] offset:16
	s_mov_b64 s[18:19], exec
	v_mbcnt_lo_u32_b32 v2, s18, 0
	v_mbcnt_hi_u32_b32 v2, s19, v2
	v_cmp_eq_u32_e32 vcc, 0, v2
	s_and_saveexec_b64 s[20:21], vcc
	s_cbranch_execz .LBB7_385
; %bb.384:
	s_bcnt1_i32_b64 s15, s[18:19]
	v_mov_b32_e32 v2, s15
	s_waitcnt vmcnt(0)
	global_atomic_add_x2 v[0:1], v[2:3], off offset:8
.LBB7_385:
	s_or_b64 exec, exec, s[20:21]
	s_waitcnt vmcnt(0)
	global_load_dwordx2 v[2:3], v[0:1], off offset:16
	s_waitcnt vmcnt(0)
	v_cmp_eq_u64_e32 vcc, 0, v[2:3]
	s_cbranch_vccnz .LBB7_387
; %bb.386:
	global_load_dword v0, v[0:1], off offset:24
	v_mov_b32_e32 v1, 0
	s_waitcnt vmcnt(0)
	global_store_dwordx2 v[2:3], v[0:1], off
	v_and_b32_e32 v0, 0xffffff, v0
	v_readfirstlane_b32 m0, v0
	s_sendmsg sendmsg(MSG_INTERRUPT)
.LBB7_387:
	s_or_b64 exec, exec, s[16:17]
	s_branch .LBB7_391
.LBB7_388:                              ;   in Loop: Header=BB7_391 Depth=1
	s_or_b64 exec, exec, s[16:17]
	v_readfirstlane_b32 s15, v0
	s_cmp_eq_u32 s15, 0
	s_cbranch_scc1 .LBB7_390
; %bb.389:                              ;   in Loop: Header=BB7_391 Depth=1
	s_sleep 1
	s_cbranch_execnz .LBB7_391
	s_branch .LBB7_393
.LBB7_390:
	s_branch .LBB7_393
.LBB7_391:                              ; =>This Inner Loop Header: Depth=1
	v_mov_b32_e32 v0, 1
	s_and_saveexec_b64 s[16:17], s[4:5]
	s_cbranch_execz .LBB7_388
; %bb.392:                              ;   in Loop: Header=BB7_391 Depth=1
	global_load_dword v0, v[6:7], off offset:20 glc
	s_waitcnt vmcnt(0)
	buffer_wbinvl1_vol
	v_and_b32_e32 v0, 1, v0
	s_branch .LBB7_388
.LBB7_393:
	global_load_dwordx2 v[9:10], v[11:12], off
	s_and_saveexec_b64 s[16:17], s[4:5]
	s_cbranch_execz .LBB7_396
; %bb.394:
	v_mov_b32_e32 v11, 0
	global_load_dwordx2 v[2:3], v11, s[48:49] offset:40
	global_load_dwordx2 v[12:13], v11, s[48:49] offset:24 glc
	global_load_dwordx2 v[6:7], v11, s[48:49]
	v_mov_b32_e32 v1, s11
	s_mov_b64 s[4:5], 0
	s_waitcnt vmcnt(2)
	v_add_co_u32_e32 v14, vcc, 1, v2
	v_addc_co_u32_e32 v15, vcc, 0, v3, vcc
	v_add_co_u32_e32 v0, vcc, s10, v14
	v_addc_co_u32_e32 v1, vcc, v15, v1, vcc
	v_cmp_eq_u64_e32 vcc, 0, v[0:1]
	v_cndmask_b32_e32 v1, v1, v15, vcc
	v_cndmask_b32_e32 v0, v0, v14, vcc
	v_and_b32_e32 v3, v1, v3
	v_and_b32_e32 v2, v0, v2
	v_mul_lo_u32 v3, v3, 24
	v_mul_hi_u32 v14, v2, 24
	v_mul_lo_u32 v15, v2, 24
	s_waitcnt vmcnt(1)
	v_mov_b32_e32 v2, v12
	v_add_u32_e32 v3, v14, v3
	s_waitcnt vmcnt(0)
	v_add_co_u32_e32 v6, vcc, v6, v15
	v_addc_co_u32_e32 v7, vcc, v7, v3, vcc
	global_store_dwordx2 v[6:7], v[12:13], off
	v_mov_b32_e32 v3, v13
	s_waitcnt vmcnt(0)
	global_atomic_cmpswap_x2 v[2:3], v11, v[0:3], s[48:49] offset:24 glc
	s_waitcnt vmcnt(0)
	v_cmp_ne_u64_e32 vcc, v[2:3], v[12:13]
	s_and_b64 exec, exec, vcc
	s_cbranch_execz .LBB7_396
.LBB7_395:                              ; =>This Inner Loop Header: Depth=1
	s_sleep 1
	global_store_dwordx2 v[6:7], v[2:3], off
	s_waitcnt vmcnt(0)
	global_atomic_cmpswap_x2 v[12:13], v11, v[0:3], s[48:49] offset:24 glc
	s_waitcnt vmcnt(0)
	v_cmp_eq_u64_e32 vcc, v[12:13], v[2:3]
	v_mov_b32_e32 v2, v12
	s_or_b64 s[4:5], vcc, s[4:5]
	v_mov_b32_e32 v3, v13
	s_andn2_b64 exec, exec, s[4:5]
	s_cbranch_execnz .LBB7_395
.LBB7_396:
	s_or_b64 exec, exec, s[16:17]
.LBB7_397:
	v_readfirstlane_b32 s4, v44
	v_mov_b32_e32 v6, 0
	v_mov_b32_e32 v7, 0
	v_cmp_eq_u32_e64 s[4:5], s4, v44
	s_and_saveexec_b64 s[10:11], s[4:5]
	s_cbranch_execz .LBB7_403
; %bb.398:
	s_waitcnt vmcnt(0)
	v_mov_b32_e32 v0, 0
	global_load_dwordx2 v[13:14], v0, s[48:49] offset:24 glc
	s_waitcnt vmcnt(0)
	buffer_wbinvl1_vol
	global_load_dwordx2 v[1:2], v0, s[48:49] offset:40
	global_load_dwordx2 v[6:7], v0, s[48:49]
	s_waitcnt vmcnt(1)
	v_and_b32_e32 v1, v1, v13
	v_and_b32_e32 v2, v2, v14
	v_mul_lo_u32 v2, v2, 24
	v_mul_hi_u32 v3, v1, 24
	v_mul_lo_u32 v1, v1, 24
	v_add_u32_e32 v2, v3, v2
	s_waitcnt vmcnt(0)
	v_add_co_u32_e32 v1, vcc, v6, v1
	v_addc_co_u32_e32 v2, vcc, v7, v2, vcc
	global_load_dwordx2 v[11:12], v[1:2], off glc
	s_waitcnt vmcnt(0)
	global_atomic_cmpswap_x2 v[6:7], v0, v[11:14], s[48:49] offset:24 glc
	s_waitcnt vmcnt(0)
	buffer_wbinvl1_vol
	v_cmp_ne_u64_e32 vcc, v[6:7], v[13:14]
	s_and_saveexec_b64 s[16:17], vcc
	s_cbranch_execz .LBB7_402
; %bb.399:
	s_mov_b64 s[18:19], 0
.LBB7_400:                              ; =>This Inner Loop Header: Depth=1
	s_sleep 1
	global_load_dwordx2 v[1:2], v0, s[48:49] offset:40
	global_load_dwordx2 v[11:12], v0, s[48:49]
	v_mov_b32_e32 v14, v7
	v_mov_b32_e32 v13, v6
	s_waitcnt vmcnt(1)
	v_and_b32_e32 v1, v1, v13
	s_waitcnt vmcnt(0)
	v_mad_u64_u32 v[6:7], s[20:21], v1, 24, v[11:12]
	v_and_b32_e32 v2, v2, v14
	v_mov_b32_e32 v1, v7
	v_mad_u64_u32 v[1:2], s[20:21], v2, 24, v[1:2]
	v_mov_b32_e32 v7, v1
	global_load_dwordx2 v[11:12], v[6:7], off glc
	s_waitcnt vmcnt(0)
	global_atomic_cmpswap_x2 v[6:7], v0, v[11:14], s[48:49] offset:24 glc
	s_waitcnt vmcnt(0)
	buffer_wbinvl1_vol
	v_cmp_eq_u64_e32 vcc, v[6:7], v[13:14]
	s_or_b64 s[18:19], vcc, s[18:19]
	s_andn2_b64 exec, exec, s[18:19]
	s_cbranch_execnz .LBB7_400
; %bb.401:
	s_or_b64 exec, exec, s[18:19]
.LBB7_402:
	s_or_b64 exec, exec, s[16:17]
.LBB7_403:
	s_or_b64 exec, exec, s[10:11]
	s_waitcnt vmcnt(0)
	v_mov_b32_e32 v12, 0
	global_load_dwordx2 v[13:14], v12, s[48:49] offset:40
	global_load_dwordx4 v[0:3], v12, s[48:49]
	v_readfirstlane_b32 s10, v6
	v_readfirstlane_b32 s11, v7
	s_mov_b64 s[16:17], exec
	s_waitcnt vmcnt(1)
	v_readfirstlane_b32 s18, v13
	v_readfirstlane_b32 s19, v14
	s_and_b64 s[18:19], s[10:11], s[18:19]
	s_mul_i32 s15, s19, 24
	s_mul_hi_u32 s20, s18, 24
	s_mul_i32 s21, s18, 24
	s_add_i32 s15, s20, s15
	v_mov_b32_e32 v7, s15
	s_waitcnt vmcnt(0)
	v_add_co_u32_e32 v6, vcc, s21, v0
	v_addc_co_u32_e32 v7, vcc, v1, v7, vcc
	s_and_saveexec_b64 s[20:21], s[4:5]
	s_cbranch_execz .LBB7_405
; %bb.404:
	v_mov_b32_e32 v13, s16
	v_mov_b32_e32 v14, s17
	;; [unrolled: 1-line block ×4, first 2 shown]
	global_store_dwordx4 v[6:7], v[13:16], off offset:8
.LBB7_405:
	s_or_b64 exec, exec, s[20:21]
	s_lshl_b64 s[16:17], s[18:19], 12
	v_mov_b32_e32 v11, s17
	v_add_co_u32_e32 v2, vcc, s16, v2
	v_addc_co_u32_e32 v3, vcc, v3, v11, vcc
	s_movk_i32 s15, 0xff1d
	v_and_or_b32 v9, v9, s15, 34
	s_mov_b32 s16, 0
	v_mov_b32_e32 v11, 10
	v_readfirstlane_b32 s20, v2
	v_readfirstlane_b32 s21, v3
	s_mov_b32 s17, s16
	s_mov_b32 s18, s16
	;; [unrolled: 1-line block ×3, first 2 shown]
	s_nop 1
	global_store_dwordx4 v40, v[9:12], s[20:21]
	s_nop 0
	v_mov_b32_e32 v9, s16
	v_mov_b32_e32 v10, s17
	;; [unrolled: 1-line block ×4, first 2 shown]
	global_store_dwordx4 v40, v[9:12], s[20:21] offset:16
	global_store_dwordx4 v40, v[9:12], s[20:21] offset:32
	;; [unrolled: 1-line block ×3, first 2 shown]
	s_and_saveexec_b64 s[16:17], s[4:5]
	s_cbranch_execz .LBB7_413
; %bb.406:
	v_mov_b32_e32 v11, 0
	global_load_dwordx2 v[14:15], v11, s[48:49] offset:32 glc
	global_load_dwordx2 v[2:3], v11, s[48:49] offset:40
	v_mov_b32_e32 v12, s10
	v_mov_b32_e32 v13, s11
	s_waitcnt vmcnt(0)
	v_readfirstlane_b32 s18, v2
	v_readfirstlane_b32 s19, v3
	s_and_b64 s[18:19], s[18:19], s[10:11]
	s_mul_i32 s15, s19, 24
	s_mul_hi_u32 s19, s18, 24
	s_mul_i32 s18, s18, 24
	s_add_i32 s15, s19, s15
	v_mov_b32_e32 v2, s15
	v_add_co_u32_e32 v9, vcc, s18, v0
	v_addc_co_u32_e32 v10, vcc, v1, v2, vcc
	global_store_dwordx2 v[9:10], v[14:15], off
	s_waitcnt vmcnt(0)
	global_atomic_cmpswap_x2 v[2:3], v11, v[12:15], s[48:49] offset:32 glc
	s_waitcnt vmcnt(0)
	v_cmp_ne_u64_e32 vcc, v[2:3], v[14:15]
	s_and_saveexec_b64 s[18:19], vcc
	s_cbranch_execz .LBB7_409
; %bb.407:
	s_mov_b64 s[20:21], 0
.LBB7_408:                              ; =>This Inner Loop Header: Depth=1
	s_sleep 1
	global_store_dwordx2 v[9:10], v[2:3], off
	v_mov_b32_e32 v0, s10
	v_mov_b32_e32 v1, s11
	s_waitcnt vmcnt(0)
	global_atomic_cmpswap_x2 v[0:1], v11, v[0:3], s[48:49] offset:32 glc
	s_waitcnt vmcnt(0)
	v_cmp_eq_u64_e32 vcc, v[0:1], v[2:3]
	v_mov_b32_e32 v3, v1
	s_or_b64 s[20:21], vcc, s[20:21]
	v_mov_b32_e32 v2, v0
	s_andn2_b64 exec, exec, s[20:21]
	s_cbranch_execnz .LBB7_408
.LBB7_409:
	s_or_b64 exec, exec, s[18:19]
	v_mov_b32_e32 v3, 0
	global_load_dwordx2 v[0:1], v3, s[48:49] offset:16
	s_mov_b64 s[18:19], exec
	v_mbcnt_lo_u32_b32 v2, s18, 0
	v_mbcnt_hi_u32_b32 v2, s19, v2
	v_cmp_eq_u32_e32 vcc, 0, v2
	s_and_saveexec_b64 s[20:21], vcc
	s_cbranch_execz .LBB7_411
; %bb.410:
	s_bcnt1_i32_b64 s15, s[18:19]
	v_mov_b32_e32 v2, s15
	s_waitcnt vmcnt(0)
	global_atomic_add_x2 v[0:1], v[2:3], off offset:8
.LBB7_411:
	s_or_b64 exec, exec, s[20:21]
	s_waitcnt vmcnt(0)
	global_load_dwordx2 v[2:3], v[0:1], off offset:16
	s_waitcnt vmcnt(0)
	v_cmp_eq_u64_e32 vcc, 0, v[2:3]
	s_cbranch_vccnz .LBB7_413
; %bb.412:
	global_load_dword v0, v[0:1], off offset:24
	v_mov_b32_e32 v1, 0
	s_waitcnt vmcnt(0)
	global_store_dwordx2 v[2:3], v[0:1], off
	v_and_b32_e32 v0, 0xffffff, v0
	v_readfirstlane_b32 m0, v0
	s_sendmsg sendmsg(MSG_INTERRUPT)
.LBB7_413:
	s_or_b64 exec, exec, s[16:17]
	s_branch .LBB7_417
.LBB7_414:                              ;   in Loop: Header=BB7_417 Depth=1
	s_or_b64 exec, exec, s[16:17]
	v_readfirstlane_b32 s15, v0
	s_cmp_eq_u32 s15, 0
	s_cbranch_scc1 .LBB7_416
; %bb.415:                              ;   in Loop: Header=BB7_417 Depth=1
	s_sleep 1
	s_cbranch_execnz .LBB7_417
	s_branch .LBB7_419
.LBB7_416:
	s_branch .LBB7_419
.LBB7_417:                              ; =>This Inner Loop Header: Depth=1
	v_mov_b32_e32 v0, 1
	s_and_saveexec_b64 s[16:17], s[4:5]
	s_cbranch_execz .LBB7_414
; %bb.418:                              ;   in Loop: Header=BB7_417 Depth=1
	global_load_dword v0, v[6:7], off offset:20 glc
	s_waitcnt vmcnt(0)
	buffer_wbinvl1_vol
	v_and_b32_e32 v0, 1, v0
	s_branch .LBB7_414
.LBB7_419:
	s_and_saveexec_b64 s[16:17], s[4:5]
	s_cbranch_execz .LBB7_422
; %bb.420:
	v_mov_b32_e32 v9, 0
	global_load_dwordx2 v[2:3], v9, s[48:49] offset:40
	global_load_dwordx2 v[10:11], v9, s[48:49] offset:24 glc
	global_load_dwordx2 v[6:7], v9, s[48:49]
	v_mov_b32_e32 v1, s11
	s_mov_b64 s[4:5], 0
	s_waitcnt vmcnt(2)
	v_add_co_u32_e32 v12, vcc, 1, v2
	v_addc_co_u32_e32 v13, vcc, 0, v3, vcc
	v_add_co_u32_e32 v0, vcc, s10, v12
	v_addc_co_u32_e32 v1, vcc, v13, v1, vcc
	v_cmp_eq_u64_e32 vcc, 0, v[0:1]
	v_cndmask_b32_e32 v1, v1, v13, vcc
	v_cndmask_b32_e32 v0, v0, v12, vcc
	v_and_b32_e32 v3, v1, v3
	v_and_b32_e32 v2, v0, v2
	v_mul_lo_u32 v3, v3, 24
	v_mul_hi_u32 v12, v2, 24
	v_mul_lo_u32 v13, v2, 24
	s_waitcnt vmcnt(1)
	v_mov_b32_e32 v2, v10
	v_add_u32_e32 v3, v12, v3
	s_waitcnt vmcnt(0)
	v_add_co_u32_e32 v6, vcc, v6, v13
	v_addc_co_u32_e32 v7, vcc, v7, v3, vcc
	global_store_dwordx2 v[6:7], v[10:11], off
	v_mov_b32_e32 v3, v11
	s_waitcnt vmcnt(0)
	global_atomic_cmpswap_x2 v[2:3], v9, v[0:3], s[48:49] offset:24 glc
	s_waitcnt vmcnt(0)
	v_cmp_ne_u64_e32 vcc, v[2:3], v[10:11]
	s_and_b64 exec, exec, vcc
	s_cbranch_execz .LBB7_422
.LBB7_421:                              ; =>This Inner Loop Header: Depth=1
	s_sleep 1
	global_store_dwordx2 v[6:7], v[2:3], off
	s_waitcnt vmcnt(0)
	global_atomic_cmpswap_x2 v[10:11], v9, v[0:3], s[48:49] offset:24 glc
	s_waitcnt vmcnt(0)
	v_cmp_eq_u64_e32 vcc, v[10:11], v[2:3]
	v_mov_b32_e32 v2, v10
	s_or_b64 s[4:5], vcc, s[4:5]
	v_mov_b32_e32 v3, v11
	s_andn2_b64 exec, exec, s[4:5]
	s_cbranch_execnz .LBB7_421
.LBB7_422:
	s_or_b64 exec, exec, s[16:17]
	v_readfirstlane_b32 s4, v44
	v_mov_b32_e32 v6, 0
	v_mov_b32_e32 v7, 0
	v_cmp_eq_u32_e64 s[4:5], s4, v44
	s_and_saveexec_b64 s[10:11], s[4:5]
	s_cbranch_execz .LBB7_428
; %bb.423:
	v_mov_b32_e32 v0, 0
	global_load_dwordx2 v[11:12], v0, s[48:49] offset:24 glc
	s_waitcnt vmcnt(0)
	buffer_wbinvl1_vol
	global_load_dwordx2 v[1:2], v0, s[48:49] offset:40
	global_load_dwordx2 v[6:7], v0, s[48:49]
	s_waitcnt vmcnt(1)
	v_and_b32_e32 v1, v1, v11
	v_and_b32_e32 v2, v2, v12
	v_mul_lo_u32 v2, v2, 24
	v_mul_hi_u32 v3, v1, 24
	v_mul_lo_u32 v1, v1, 24
	v_add_u32_e32 v2, v3, v2
	s_waitcnt vmcnt(0)
	v_add_co_u32_e32 v1, vcc, v6, v1
	v_addc_co_u32_e32 v2, vcc, v7, v2, vcc
	global_load_dwordx2 v[9:10], v[1:2], off glc
	s_waitcnt vmcnt(0)
	global_atomic_cmpswap_x2 v[6:7], v0, v[9:12], s[48:49] offset:24 glc
	s_waitcnt vmcnt(0)
	buffer_wbinvl1_vol
	v_cmp_ne_u64_e32 vcc, v[6:7], v[11:12]
	s_and_saveexec_b64 s[16:17], vcc
	s_cbranch_execz .LBB7_427
; %bb.424:
	s_mov_b64 s[18:19], 0
.LBB7_425:                              ; =>This Inner Loop Header: Depth=1
	s_sleep 1
	global_load_dwordx2 v[1:2], v0, s[48:49] offset:40
	global_load_dwordx2 v[9:10], v0, s[48:49]
	v_mov_b32_e32 v12, v7
	v_mov_b32_e32 v11, v6
	s_waitcnt vmcnt(1)
	v_and_b32_e32 v1, v1, v11
	s_waitcnt vmcnt(0)
	v_mad_u64_u32 v[6:7], s[20:21], v1, 24, v[9:10]
	v_and_b32_e32 v2, v2, v12
	v_mov_b32_e32 v1, v7
	v_mad_u64_u32 v[1:2], s[20:21], v2, 24, v[1:2]
	v_mov_b32_e32 v7, v1
	global_load_dwordx2 v[9:10], v[6:7], off glc
	s_waitcnt vmcnt(0)
	global_atomic_cmpswap_x2 v[6:7], v0, v[9:12], s[48:49] offset:24 glc
	s_waitcnt vmcnt(0)
	buffer_wbinvl1_vol
	v_cmp_eq_u64_e32 vcc, v[6:7], v[11:12]
	s_or_b64 s[18:19], vcc, s[18:19]
	s_andn2_b64 exec, exec, s[18:19]
	s_cbranch_execnz .LBB7_425
; %bb.426:
	s_or_b64 exec, exec, s[18:19]
.LBB7_427:
	s_or_b64 exec, exec, s[16:17]
.LBB7_428:
	s_or_b64 exec, exec, s[10:11]
	v_mov_b32_e32 v10, 0
	global_load_dwordx2 v[11:12], v10, s[48:49] offset:40
	global_load_dwordx4 v[0:3], v10, s[48:49]
	v_readfirstlane_b32 s10, v6
	v_readfirstlane_b32 s11, v7
	s_mov_b64 s[16:17], exec
	s_waitcnt vmcnt(1)
	v_readfirstlane_b32 s18, v11
	v_readfirstlane_b32 s19, v12
	s_and_b64 s[18:19], s[10:11], s[18:19]
	s_mul_i32 s15, s19, 24
	s_mul_hi_u32 s20, s18, 24
	s_mul_i32 s21, s18, 24
	s_add_i32 s15, s20, s15
	v_mov_b32_e32 v7, s15
	s_waitcnt vmcnt(0)
	v_add_co_u32_e32 v6, vcc, s21, v0
	v_addc_co_u32_e32 v7, vcc, v1, v7, vcc
	s_and_saveexec_b64 s[20:21], s[4:5]
	s_cbranch_execz .LBB7_430
; %bb.429:
	v_mov_b32_e32 v11, s16
	v_mov_b32_e32 v12, s17
	;; [unrolled: 1-line block ×4, first 2 shown]
	global_store_dwordx4 v[6:7], v[11:14], off offset:8
.LBB7_430:
	s_or_b64 exec, exec, s[20:21]
	s_lshl_b64 s[16:17], s[18:19], 12
	v_mov_b32_e32 v9, s17
	v_add_co_u32_e32 v2, vcc, s16, v2
	v_addc_co_u32_e32 v3, vcc, v3, v9, vcc
	s_mov_b32 s16, 0
	v_mov_b32_e32 v9, 33
	v_mov_b32_e32 v11, v10
	;; [unrolled: 1-line block ×3, first 2 shown]
	v_readfirstlane_b32 s20, v2
	v_readfirstlane_b32 s21, v3
	v_add_co_u32_e32 v13, vcc, v2, v40
	s_mov_b32 s17, s16
	s_mov_b32 s18, s16
	;; [unrolled: 1-line block ×3, first 2 shown]
	s_nop 0
	global_store_dwordx4 v40, v[9:12], s[20:21]
	v_addc_co_u32_e32 v14, vcc, 0, v3, vcc
	v_mov_b32_e32 v9, s16
	v_mov_b32_e32 v10, s17
	;; [unrolled: 1-line block ×4, first 2 shown]
	global_store_dwordx4 v40, v[9:12], s[20:21] offset:16
	global_store_dwordx4 v40, v[9:12], s[20:21] offset:32
	;; [unrolled: 1-line block ×3, first 2 shown]
	s_and_saveexec_b64 s[16:17], s[4:5]
	s_cbranch_execz .LBB7_438
; %bb.431:
	v_mov_b32_e32 v11, 0
	global_load_dwordx2 v[17:18], v11, s[48:49] offset:32 glc
	global_load_dwordx2 v[2:3], v11, s[48:49] offset:40
	v_mov_b32_e32 v15, s10
	v_mov_b32_e32 v16, s11
	s_waitcnt vmcnt(0)
	v_readfirstlane_b32 s18, v2
	v_readfirstlane_b32 s19, v3
	s_and_b64 s[18:19], s[18:19], s[10:11]
	s_mul_i32 s15, s19, 24
	s_mul_hi_u32 s19, s18, 24
	s_mul_i32 s18, s18, 24
	s_add_i32 s15, s19, s15
	v_mov_b32_e32 v2, s15
	v_add_co_u32_e32 v9, vcc, s18, v0
	v_addc_co_u32_e32 v10, vcc, v1, v2, vcc
	global_store_dwordx2 v[9:10], v[17:18], off
	s_waitcnt vmcnt(0)
	global_atomic_cmpswap_x2 v[2:3], v11, v[15:18], s[48:49] offset:32 glc
	s_waitcnt vmcnt(0)
	v_cmp_ne_u64_e32 vcc, v[2:3], v[17:18]
	s_and_saveexec_b64 s[18:19], vcc
	s_cbranch_execz .LBB7_434
; %bb.432:
	s_mov_b64 s[20:21], 0
.LBB7_433:                              ; =>This Inner Loop Header: Depth=1
	s_sleep 1
	global_store_dwordx2 v[9:10], v[2:3], off
	v_mov_b32_e32 v0, s10
	v_mov_b32_e32 v1, s11
	s_waitcnt vmcnt(0)
	global_atomic_cmpswap_x2 v[0:1], v11, v[0:3], s[48:49] offset:32 glc
	s_waitcnt vmcnt(0)
	v_cmp_eq_u64_e32 vcc, v[0:1], v[2:3]
	v_mov_b32_e32 v3, v1
	s_or_b64 s[20:21], vcc, s[20:21]
	v_mov_b32_e32 v2, v0
	s_andn2_b64 exec, exec, s[20:21]
	s_cbranch_execnz .LBB7_433
.LBB7_434:
	s_or_b64 exec, exec, s[18:19]
	v_mov_b32_e32 v3, 0
	global_load_dwordx2 v[0:1], v3, s[48:49] offset:16
	s_mov_b64 s[18:19], exec
	v_mbcnt_lo_u32_b32 v2, s18, 0
	v_mbcnt_hi_u32_b32 v2, s19, v2
	v_cmp_eq_u32_e32 vcc, 0, v2
	s_and_saveexec_b64 s[20:21], vcc
	s_cbranch_execz .LBB7_436
; %bb.435:
	s_bcnt1_i32_b64 s15, s[18:19]
	v_mov_b32_e32 v2, s15
	s_waitcnt vmcnt(0)
	global_atomic_add_x2 v[0:1], v[2:3], off offset:8
.LBB7_436:
	s_or_b64 exec, exec, s[20:21]
	s_waitcnt vmcnt(0)
	global_load_dwordx2 v[2:3], v[0:1], off offset:16
	s_waitcnt vmcnt(0)
	v_cmp_eq_u64_e32 vcc, 0, v[2:3]
	s_cbranch_vccnz .LBB7_438
; %bb.437:
	global_load_dword v0, v[0:1], off offset:24
	v_mov_b32_e32 v1, 0
	s_waitcnt vmcnt(0)
	global_store_dwordx2 v[2:3], v[0:1], off
	v_and_b32_e32 v0, 0xffffff, v0
	v_readfirstlane_b32 m0, v0
	s_sendmsg sendmsg(MSG_INTERRUPT)
.LBB7_438:
	s_or_b64 exec, exec, s[16:17]
	s_branch .LBB7_442
.LBB7_439:                              ;   in Loop: Header=BB7_442 Depth=1
	s_or_b64 exec, exec, s[16:17]
	v_readfirstlane_b32 s15, v0
	s_cmp_eq_u32 s15, 0
	s_cbranch_scc1 .LBB7_441
; %bb.440:                              ;   in Loop: Header=BB7_442 Depth=1
	s_sleep 1
	s_cbranch_execnz .LBB7_442
	s_branch .LBB7_444
.LBB7_441:
	s_branch .LBB7_444
.LBB7_442:                              ; =>This Inner Loop Header: Depth=1
	v_mov_b32_e32 v0, 1
	s_and_saveexec_b64 s[16:17], s[4:5]
	s_cbranch_execz .LBB7_439
; %bb.443:                              ;   in Loop: Header=BB7_442 Depth=1
	global_load_dword v0, v[6:7], off offset:20 glc
	s_waitcnt vmcnt(0)
	buffer_wbinvl1_vol
	v_and_b32_e32 v0, 1, v0
	s_branch .LBB7_439
.LBB7_444:
	global_load_dwordx2 v[9:10], v[13:14], off
	s_and_saveexec_b64 s[16:17], s[4:5]
	s_cbranch_execz .LBB7_447
; %bb.445:
	v_mov_b32_e32 v11, 0
	global_load_dwordx2 v[2:3], v11, s[48:49] offset:40
	global_load_dwordx2 v[12:13], v11, s[48:49] offset:24 glc
	global_load_dwordx2 v[6:7], v11, s[48:49]
	v_mov_b32_e32 v1, s11
	s_mov_b64 s[4:5], 0
	s_waitcnt vmcnt(2)
	v_add_co_u32_e32 v14, vcc, 1, v2
	v_addc_co_u32_e32 v15, vcc, 0, v3, vcc
	v_add_co_u32_e32 v0, vcc, s10, v14
	v_addc_co_u32_e32 v1, vcc, v15, v1, vcc
	v_cmp_eq_u64_e32 vcc, 0, v[0:1]
	v_cndmask_b32_e32 v1, v1, v15, vcc
	v_cndmask_b32_e32 v0, v0, v14, vcc
	v_and_b32_e32 v3, v1, v3
	v_and_b32_e32 v2, v0, v2
	v_mul_lo_u32 v3, v3, 24
	v_mul_hi_u32 v14, v2, 24
	v_mul_lo_u32 v15, v2, 24
	s_waitcnt vmcnt(1)
	v_mov_b32_e32 v2, v12
	v_add_u32_e32 v3, v14, v3
	s_waitcnt vmcnt(0)
	v_add_co_u32_e32 v6, vcc, v6, v15
	v_addc_co_u32_e32 v7, vcc, v7, v3, vcc
	global_store_dwordx2 v[6:7], v[12:13], off
	v_mov_b32_e32 v3, v13
	s_waitcnt vmcnt(0)
	global_atomic_cmpswap_x2 v[2:3], v11, v[0:3], s[48:49] offset:24 glc
	s_waitcnt vmcnt(0)
	v_cmp_ne_u64_e32 vcc, v[2:3], v[12:13]
	s_and_b64 exec, exec, vcc
	s_cbranch_execz .LBB7_447
.LBB7_446:                              ; =>This Inner Loop Header: Depth=1
	s_sleep 1
	global_store_dwordx2 v[6:7], v[2:3], off
	s_waitcnt vmcnt(0)
	global_atomic_cmpswap_x2 v[12:13], v11, v[0:3], s[48:49] offset:24 glc
	s_waitcnt vmcnt(0)
	v_cmp_eq_u64_e32 vcc, v[12:13], v[2:3]
	v_mov_b32_e32 v2, v12
	s_or_b64 s[4:5], vcc, s[4:5]
	v_mov_b32_e32 v3, v13
	s_andn2_b64 exec, exec, s[4:5]
	s_cbranch_execnz .LBB7_446
.LBB7_447:
	s_or_b64 exec, exec, s[16:17]
	s_and_b64 vcc, exec, s[6:7]
	s_cbranch_vccz .LBB7_532
; %bb.448:
	s_waitcnt vmcnt(0)
	v_and_b32_e32 v33, 2, v9
	v_mov_b32_e32 v7, 0
	v_and_b32_e32 v0, -3, v9
	v_mov_b32_e32 v1, v10
	s_mov_b64 s[16:17], 3
	v_mov_b32_e32 v13, 2
	v_mov_b32_e32 v14, 1
	s_getpc_b64 s[10:11]
	s_add_u32 s10, s10, .str.5@rel32@lo+4
	s_addc_u32 s11, s11, .str.5@rel32@hi+12
	s_branch .LBB7_450
.LBB7_449:                              ;   in Loop: Header=BB7_450 Depth=1
	s_or_b64 exec, exec, s[22:23]
	s_sub_u32 s16, s16, s18
	s_subb_u32 s17, s17, s19
	s_add_u32 s10, s10, s18
	s_addc_u32 s11, s11, s19
	s_cmp_lg_u64 s[16:17], 0
	s_cbranch_scc0 .LBB7_531
.LBB7_450:                              ; =>This Loop Header: Depth=1
                                        ;     Child Loop BB7_453 Depth 2
                                        ;     Child Loop BB7_460 Depth 2
	;; [unrolled: 1-line block ×11, first 2 shown]
	v_cmp_lt_u64_e64 s[4:5], s[16:17], 56
	v_cmp_gt_u64_e64 s[20:21], s[16:17], 7
	s_and_b64 s[4:5], s[4:5], exec
	s_cselect_b32 s19, s17, 0
	s_cselect_b32 s18, s16, 56
	s_and_b64 vcc, exec, s[20:21]
	s_cbranch_vccnz .LBB7_455
; %bb.451:                              ;   in Loop: Header=BB7_450 Depth=1
	s_waitcnt vmcnt(0)
	v_mov_b32_e32 v2, 0
	s_cmp_eq_u64 s[16:17], 0
	v_mov_b32_e32 v3, 0
	s_mov_b64 s[4:5], 0
	s_cbranch_scc1 .LBB7_454
; %bb.452:                              ;   in Loop: Header=BB7_450 Depth=1
	v_mov_b32_e32 v2, 0
	s_lshl_b64 s[20:21], s[18:19], 3
	s_mov_b64 s[22:23], 0
	v_mov_b32_e32 v3, 0
	s_mov_b64 s[24:25], s[10:11]
.LBB7_453:                              ;   Parent Loop BB7_450 Depth=1
                                        ; =>  This Inner Loop Header: Depth=2
	global_load_ubyte v6, v7, s[24:25]
	s_waitcnt vmcnt(0)
	v_and_b32_e32 v6, 0xffff, v6
	v_lshlrev_b64 v[11:12], s22, v[6:7]
	s_add_u32 s22, s22, 8
	s_addc_u32 s23, s23, 0
	s_add_u32 s24, s24, 1
	s_addc_u32 s25, s25, 0
	v_or_b32_e32 v2, v11, v2
	s_cmp_lg_u32 s20, s22
	v_or_b32_e32 v3, v12, v3
	s_cbranch_scc1 .LBB7_453
.LBB7_454:                              ;   in Loop: Header=BB7_450 Depth=1
	s_mov_b32 s15, 0
	s_andn2_b64 vcc, exec, s[4:5]
	s_mov_b64 s[4:5], s[10:11]
	s_cbranch_vccz .LBB7_456
	s_branch .LBB7_457
.LBB7_455:                              ;   in Loop: Header=BB7_450 Depth=1
                                        ; implicit-def: $vgpr2_vgpr3
                                        ; implicit-def: $sgpr15
	s_mov_b64 s[4:5], s[10:11]
.LBB7_456:                              ;   in Loop: Header=BB7_450 Depth=1
	global_load_dwordx2 v[2:3], v7, s[10:11]
	s_add_i32 s15, s18, -8
	s_add_u32 s4, s10, 8
	s_addc_u32 s5, s11, 0
.LBB7_457:                              ;   in Loop: Header=BB7_450 Depth=1
	s_cmp_gt_u32 s15, 7
	s_cbranch_scc1 .LBB7_461
; %bb.458:                              ;   in Loop: Header=BB7_450 Depth=1
	s_cmp_eq_u32 s15, 0
	s_cbranch_scc1 .LBB7_462
; %bb.459:                              ;   in Loop: Header=BB7_450 Depth=1
	v_mov_b32_e32 v15, 0
	s_mov_b64 s[20:21], 0
	v_mov_b32_e32 v16, 0
	s_mov_b64 s[22:23], 0
.LBB7_460:                              ;   Parent Loop BB7_450 Depth=1
                                        ; =>  This Inner Loop Header: Depth=2
	s_add_u32 s24, s4, s22
	s_addc_u32 s25, s5, s23
	global_load_ubyte v6, v7, s[24:25]
	s_add_u32 s22, s22, 1
	s_addc_u32 s23, s23, 0
	s_waitcnt vmcnt(0)
	v_and_b32_e32 v6, 0xffff, v6
	v_lshlrev_b64 v[11:12], s20, v[6:7]
	s_add_u32 s20, s20, 8
	s_addc_u32 s21, s21, 0
	v_or_b32_e32 v15, v11, v15
	s_cmp_lg_u32 s15, s22
	v_or_b32_e32 v16, v12, v16
	s_cbranch_scc1 .LBB7_460
	s_branch .LBB7_463
.LBB7_461:                              ;   in Loop: Header=BB7_450 Depth=1
                                        ; implicit-def: $vgpr15_vgpr16
                                        ; implicit-def: $sgpr24
	s_branch .LBB7_464
.LBB7_462:                              ;   in Loop: Header=BB7_450 Depth=1
	v_mov_b32_e32 v15, 0
	v_mov_b32_e32 v16, 0
.LBB7_463:                              ;   in Loop: Header=BB7_450 Depth=1
	s_mov_b32 s24, 0
	s_cbranch_execnz .LBB7_465
.LBB7_464:                              ;   in Loop: Header=BB7_450 Depth=1
	global_load_dwordx2 v[15:16], v7, s[4:5]
	s_add_i32 s24, s15, -8
	s_add_u32 s4, s4, 8
	s_addc_u32 s5, s5, 0
.LBB7_465:                              ;   in Loop: Header=BB7_450 Depth=1
	s_cmp_gt_u32 s24, 7
	s_cbranch_scc1 .LBB7_469
; %bb.466:                              ;   in Loop: Header=BB7_450 Depth=1
	s_cmp_eq_u32 s24, 0
	s_cbranch_scc1 .LBB7_470
; %bb.467:                              ;   in Loop: Header=BB7_450 Depth=1
	v_mov_b32_e32 v17, 0
	s_mov_b64 s[20:21], 0
	v_mov_b32_e32 v18, 0
	s_mov_b64 s[22:23], 0
.LBB7_468:                              ;   Parent Loop BB7_450 Depth=1
                                        ; =>  This Inner Loop Header: Depth=2
	s_add_u32 s26, s4, s22
	s_addc_u32 s27, s5, s23
	global_load_ubyte v6, v7, s[26:27]
	s_add_u32 s22, s22, 1
	s_addc_u32 s23, s23, 0
	s_waitcnt vmcnt(0)
	v_and_b32_e32 v6, 0xffff, v6
	v_lshlrev_b64 v[11:12], s20, v[6:7]
	s_add_u32 s20, s20, 8
	s_addc_u32 s21, s21, 0
	v_or_b32_e32 v17, v11, v17
	s_cmp_lg_u32 s24, s22
	v_or_b32_e32 v18, v12, v18
	s_cbranch_scc1 .LBB7_468
	s_branch .LBB7_471
.LBB7_469:                              ;   in Loop: Header=BB7_450 Depth=1
                                        ; implicit-def: $sgpr15
	s_branch .LBB7_472
.LBB7_470:                              ;   in Loop: Header=BB7_450 Depth=1
	v_mov_b32_e32 v17, 0
	v_mov_b32_e32 v18, 0
.LBB7_471:                              ;   in Loop: Header=BB7_450 Depth=1
	s_mov_b32 s15, 0
	s_cbranch_execnz .LBB7_473
.LBB7_472:                              ;   in Loop: Header=BB7_450 Depth=1
	global_load_dwordx2 v[17:18], v7, s[4:5]
	s_add_i32 s15, s24, -8
	s_add_u32 s4, s4, 8
	s_addc_u32 s5, s5, 0
.LBB7_473:                              ;   in Loop: Header=BB7_450 Depth=1
	s_cmp_gt_u32 s15, 7
	s_cbranch_scc1 .LBB7_477
; %bb.474:                              ;   in Loop: Header=BB7_450 Depth=1
	s_cmp_eq_u32 s15, 0
	s_cbranch_scc1 .LBB7_478
; %bb.475:                              ;   in Loop: Header=BB7_450 Depth=1
	v_mov_b32_e32 v19, 0
	s_mov_b64 s[20:21], 0
	v_mov_b32_e32 v20, 0
	s_mov_b64 s[22:23], 0
.LBB7_476:                              ;   Parent Loop BB7_450 Depth=1
                                        ; =>  This Inner Loop Header: Depth=2
	s_add_u32 s24, s4, s22
	s_addc_u32 s25, s5, s23
	global_load_ubyte v6, v7, s[24:25]
	s_add_u32 s22, s22, 1
	s_addc_u32 s23, s23, 0
	s_waitcnt vmcnt(0)
	v_and_b32_e32 v6, 0xffff, v6
	v_lshlrev_b64 v[11:12], s20, v[6:7]
	s_add_u32 s20, s20, 8
	s_addc_u32 s21, s21, 0
	v_or_b32_e32 v19, v11, v19
	s_cmp_lg_u32 s15, s22
	v_or_b32_e32 v20, v12, v20
	s_cbranch_scc1 .LBB7_476
	s_branch .LBB7_479
.LBB7_477:                              ;   in Loop: Header=BB7_450 Depth=1
                                        ; implicit-def: $vgpr19_vgpr20
                                        ; implicit-def: $sgpr24
	s_branch .LBB7_480
.LBB7_478:                              ;   in Loop: Header=BB7_450 Depth=1
	v_mov_b32_e32 v19, 0
	v_mov_b32_e32 v20, 0
.LBB7_479:                              ;   in Loop: Header=BB7_450 Depth=1
	s_mov_b32 s24, 0
	s_cbranch_execnz .LBB7_481
.LBB7_480:                              ;   in Loop: Header=BB7_450 Depth=1
	global_load_dwordx2 v[19:20], v7, s[4:5]
	s_add_i32 s24, s15, -8
	s_add_u32 s4, s4, 8
	s_addc_u32 s5, s5, 0
.LBB7_481:                              ;   in Loop: Header=BB7_450 Depth=1
	s_cmp_gt_u32 s24, 7
	s_cbranch_scc1 .LBB7_485
; %bb.482:                              ;   in Loop: Header=BB7_450 Depth=1
	s_cmp_eq_u32 s24, 0
	s_cbranch_scc1 .LBB7_486
; %bb.483:                              ;   in Loop: Header=BB7_450 Depth=1
	v_mov_b32_e32 v21, 0
	s_mov_b64 s[20:21], 0
	v_mov_b32_e32 v22, 0
	s_mov_b64 s[22:23], 0
.LBB7_484:                              ;   Parent Loop BB7_450 Depth=1
                                        ; =>  This Inner Loop Header: Depth=2
	s_add_u32 s26, s4, s22
	s_addc_u32 s27, s5, s23
	global_load_ubyte v6, v7, s[26:27]
	s_add_u32 s22, s22, 1
	s_addc_u32 s23, s23, 0
	s_waitcnt vmcnt(0)
	v_and_b32_e32 v6, 0xffff, v6
	v_lshlrev_b64 v[11:12], s20, v[6:7]
	s_add_u32 s20, s20, 8
	s_addc_u32 s21, s21, 0
	v_or_b32_e32 v21, v11, v21
	s_cmp_lg_u32 s24, s22
	v_or_b32_e32 v22, v12, v22
	s_cbranch_scc1 .LBB7_484
	s_branch .LBB7_487
.LBB7_485:                              ;   in Loop: Header=BB7_450 Depth=1
                                        ; implicit-def: $sgpr15
	s_branch .LBB7_488
.LBB7_486:                              ;   in Loop: Header=BB7_450 Depth=1
	v_mov_b32_e32 v21, 0
	v_mov_b32_e32 v22, 0
.LBB7_487:                              ;   in Loop: Header=BB7_450 Depth=1
	s_mov_b32 s15, 0
	s_cbranch_execnz .LBB7_489
.LBB7_488:                              ;   in Loop: Header=BB7_450 Depth=1
	global_load_dwordx2 v[21:22], v7, s[4:5]
	s_add_i32 s15, s24, -8
	s_add_u32 s4, s4, 8
	s_addc_u32 s5, s5, 0
.LBB7_489:                              ;   in Loop: Header=BB7_450 Depth=1
	s_cmp_gt_u32 s15, 7
	s_cbranch_scc1 .LBB7_493
; %bb.490:                              ;   in Loop: Header=BB7_450 Depth=1
	s_cmp_eq_u32 s15, 0
	s_cbranch_scc1 .LBB7_494
; %bb.491:                              ;   in Loop: Header=BB7_450 Depth=1
	v_mov_b32_e32 v23, 0
	s_mov_b64 s[20:21], 0
	v_mov_b32_e32 v24, 0
	s_mov_b64 s[22:23], 0
.LBB7_492:                              ;   Parent Loop BB7_450 Depth=1
                                        ; =>  This Inner Loop Header: Depth=2
	s_add_u32 s24, s4, s22
	s_addc_u32 s25, s5, s23
	global_load_ubyte v6, v7, s[24:25]
	s_add_u32 s22, s22, 1
	s_addc_u32 s23, s23, 0
	s_waitcnt vmcnt(0)
	v_and_b32_e32 v6, 0xffff, v6
	v_lshlrev_b64 v[11:12], s20, v[6:7]
	s_add_u32 s20, s20, 8
	s_addc_u32 s21, s21, 0
	v_or_b32_e32 v23, v11, v23
	s_cmp_lg_u32 s15, s22
	v_or_b32_e32 v24, v12, v24
	s_cbranch_scc1 .LBB7_492
	s_branch .LBB7_495
.LBB7_493:                              ;   in Loop: Header=BB7_450 Depth=1
                                        ; implicit-def: $vgpr23_vgpr24
                                        ; implicit-def: $sgpr24
	s_branch .LBB7_496
.LBB7_494:                              ;   in Loop: Header=BB7_450 Depth=1
	v_mov_b32_e32 v23, 0
	v_mov_b32_e32 v24, 0
.LBB7_495:                              ;   in Loop: Header=BB7_450 Depth=1
	s_mov_b32 s24, 0
	s_cbranch_execnz .LBB7_497
.LBB7_496:                              ;   in Loop: Header=BB7_450 Depth=1
	global_load_dwordx2 v[23:24], v7, s[4:5]
	s_add_i32 s24, s15, -8
	s_add_u32 s4, s4, 8
	s_addc_u32 s5, s5, 0
.LBB7_497:                              ;   in Loop: Header=BB7_450 Depth=1
	s_cmp_gt_u32 s24, 7
	s_cbranch_scc1 .LBB7_501
; %bb.498:                              ;   in Loop: Header=BB7_450 Depth=1
	s_cmp_eq_u32 s24, 0
	s_cbranch_scc1 .LBB7_502
; %bb.499:                              ;   in Loop: Header=BB7_450 Depth=1
	v_mov_b32_e32 v25, 0
	s_mov_b64 s[20:21], 0
	v_mov_b32_e32 v26, 0
	s_mov_b64 s[22:23], s[4:5]
.LBB7_500:                              ;   Parent Loop BB7_450 Depth=1
                                        ; =>  This Inner Loop Header: Depth=2
	global_load_ubyte v6, v7, s[22:23]
	s_add_i32 s24, s24, -1
	s_waitcnt vmcnt(0)
	v_and_b32_e32 v6, 0xffff, v6
	v_lshlrev_b64 v[11:12], s20, v[6:7]
	s_add_u32 s20, s20, 8
	s_addc_u32 s21, s21, 0
	s_add_u32 s22, s22, 1
	s_addc_u32 s23, s23, 0
	v_or_b32_e32 v25, v11, v25
	s_cmp_lg_u32 s24, 0
	v_or_b32_e32 v26, v12, v26
	s_cbranch_scc1 .LBB7_500
	s_branch .LBB7_503
.LBB7_501:                              ;   in Loop: Header=BB7_450 Depth=1
	s_branch .LBB7_504
.LBB7_502:                              ;   in Loop: Header=BB7_450 Depth=1
	v_mov_b32_e32 v25, 0
	v_mov_b32_e32 v26, 0
.LBB7_503:                              ;   in Loop: Header=BB7_450 Depth=1
	s_cbranch_execnz .LBB7_505
.LBB7_504:                              ;   in Loop: Header=BB7_450 Depth=1
	global_load_dwordx2 v[25:26], v7, s[4:5]
.LBB7_505:                              ;   in Loop: Header=BB7_450 Depth=1
	v_readfirstlane_b32 s4, v44
	v_mov_b32_e32 v11, 0
	v_mov_b32_e32 v12, 0
	v_cmp_eq_u32_e64 s[4:5], s4, v44
	s_and_saveexec_b64 s[20:21], s[4:5]
	s_cbranch_execz .LBB7_511
; %bb.506:                              ;   in Loop: Header=BB7_450 Depth=1
	global_load_dwordx2 v[29:30], v7, s[48:49] offset:24 glc
	s_waitcnt vmcnt(0)
	buffer_wbinvl1_vol
	global_load_dwordx2 v[11:12], v7, s[48:49] offset:40
	global_load_dwordx2 v[27:28], v7, s[48:49]
	s_waitcnt vmcnt(1)
	v_and_b32_e32 v6, v11, v29
	v_and_b32_e32 v11, v12, v30
	v_mul_lo_u32 v11, v11, 24
	v_mul_hi_u32 v12, v6, 24
	v_mul_lo_u32 v6, v6, 24
	v_add_u32_e32 v12, v12, v11
	s_waitcnt vmcnt(0)
	v_add_co_u32_e32 v11, vcc, v27, v6
	v_addc_co_u32_e32 v12, vcc, v28, v12, vcc
	global_load_dwordx2 v[27:28], v[11:12], off glc
	s_waitcnt vmcnt(0)
	global_atomic_cmpswap_x2 v[11:12], v7, v[27:30], s[48:49] offset:24 glc
	s_waitcnt vmcnt(0)
	buffer_wbinvl1_vol
	v_cmp_ne_u64_e32 vcc, v[11:12], v[29:30]
	s_and_saveexec_b64 s[22:23], vcc
	s_cbranch_execz .LBB7_510
; %bb.507:                              ;   in Loop: Header=BB7_450 Depth=1
	s_mov_b64 s[24:25], 0
.LBB7_508:                              ;   Parent Loop BB7_450 Depth=1
                                        ; =>  This Inner Loop Header: Depth=2
	s_sleep 1
	global_load_dwordx2 v[27:28], v7, s[48:49] offset:40
	global_load_dwordx2 v[31:32], v7, s[48:49]
	v_mov_b32_e32 v30, v12
	v_mov_b32_e32 v29, v11
	s_waitcnt vmcnt(1)
	v_and_b32_e32 v6, v27, v29
	s_waitcnt vmcnt(0)
	v_mad_u64_u32 v[11:12], s[26:27], v6, 24, v[31:32]
	v_and_b32_e32 v27, v28, v30
	v_mov_b32_e32 v6, v12
	v_mad_u64_u32 v[27:28], s[26:27], v27, 24, v[6:7]
	v_mov_b32_e32 v12, v27
	global_load_dwordx2 v[27:28], v[11:12], off glc
	s_waitcnt vmcnt(0)
	global_atomic_cmpswap_x2 v[11:12], v7, v[27:30], s[48:49] offset:24 glc
	s_waitcnt vmcnt(0)
	buffer_wbinvl1_vol
	v_cmp_eq_u64_e32 vcc, v[11:12], v[29:30]
	s_or_b64 s[24:25], vcc, s[24:25]
	s_andn2_b64 exec, exec, s[24:25]
	s_cbranch_execnz .LBB7_508
; %bb.509:                              ;   in Loop: Header=BB7_450 Depth=1
	s_or_b64 exec, exec, s[24:25]
.LBB7_510:                              ;   in Loop: Header=BB7_450 Depth=1
	s_or_b64 exec, exec, s[22:23]
.LBB7_511:                              ;   in Loop: Header=BB7_450 Depth=1
	s_or_b64 exec, exec, s[20:21]
	global_load_dwordx2 v[31:32], v7, s[48:49] offset:40
	global_load_dwordx4 v[27:30], v7, s[48:49]
	v_readfirstlane_b32 s20, v11
	v_readfirstlane_b32 s21, v12
	s_mov_b64 s[22:23], exec
	s_waitcnt vmcnt(1)
	v_readfirstlane_b32 s24, v31
	v_readfirstlane_b32 s25, v32
	s_and_b64 s[24:25], s[20:21], s[24:25]
	s_mul_i32 s15, s25, 24
	s_mul_hi_u32 s26, s24, 24
	s_mul_i32 s27, s24, 24
	s_add_i32 s15, s26, s15
	v_mov_b32_e32 v6, s15
	s_waitcnt vmcnt(0)
	v_add_co_u32_e32 v31, vcc, s27, v27
	v_addc_co_u32_e32 v32, vcc, v28, v6, vcc
	s_and_saveexec_b64 s[26:27], s[4:5]
	s_cbranch_execz .LBB7_513
; %bb.512:                              ;   in Loop: Header=BB7_450 Depth=1
	v_mov_b32_e32 v11, s22
	v_mov_b32_e32 v12, s23
	global_store_dwordx4 v[31:32], v[11:14], off offset:8
.LBB7_513:                              ;   in Loop: Header=BB7_450 Depth=1
	s_or_b64 exec, exec, s[26:27]
	s_lshl_b64 s[22:23], s[24:25], 12
	v_mov_b32_e32 v6, s23
	v_add_co_u32_e32 v29, vcc, s22, v29
	v_addc_co_u32_e32 v30, vcc, v30, v6, vcc
	v_cmp_gt_u64_e64 vcc, s[16:17], 56
	v_or_b32_e32 v11, v0, v33
	s_lshl_b32 s15, s18, 2
	v_cndmask_b32_e32 v0, v11, v0, vcc
	s_add_i32 s15, s15, 28
	v_or_b32_e32 v6, 0, v1
	s_and_b32 s15, s15, 0x1e0
	v_and_b32_e32 v0, 0xffffff1f, v0
	v_cndmask_b32_e32 v1, v6, v1, vcc
	v_or_b32_e32 v0, s15, v0
	v_readfirstlane_b32 s22, v29
	v_readfirstlane_b32 s23, v30
	s_nop 4
	global_store_dwordx4 v40, v[0:3], s[22:23]
	global_store_dwordx4 v40, v[15:18], s[22:23] offset:16
	global_store_dwordx4 v40, v[19:22], s[22:23] offset:32
	;; [unrolled: 1-line block ×3, first 2 shown]
	s_and_saveexec_b64 s[22:23], s[4:5]
	s_cbranch_execz .LBB7_521
; %bb.514:                              ;   in Loop: Header=BB7_450 Depth=1
	global_load_dwordx2 v[17:18], v7, s[48:49] offset:32 glc
	global_load_dwordx2 v[0:1], v7, s[48:49] offset:40
	v_mov_b32_e32 v15, s20
	v_mov_b32_e32 v16, s21
	s_waitcnt vmcnt(0)
	v_readfirstlane_b32 s24, v0
	v_readfirstlane_b32 s25, v1
	s_and_b64 s[24:25], s[24:25], s[20:21]
	s_mul_i32 s15, s25, 24
	s_mul_hi_u32 s25, s24, 24
	s_mul_i32 s24, s24, 24
	s_add_i32 s15, s25, s15
	v_mov_b32_e32 v0, s15
	v_add_co_u32_e32 v11, vcc, s24, v27
	v_addc_co_u32_e32 v12, vcc, v28, v0, vcc
	global_store_dwordx2 v[11:12], v[17:18], off
	s_waitcnt vmcnt(0)
	global_atomic_cmpswap_x2 v[2:3], v7, v[15:18], s[48:49] offset:32 glc
	s_waitcnt vmcnt(0)
	v_cmp_ne_u64_e32 vcc, v[2:3], v[17:18]
	s_and_saveexec_b64 s[24:25], vcc
	s_cbranch_execz .LBB7_517
; %bb.515:                              ;   in Loop: Header=BB7_450 Depth=1
	s_mov_b64 s[26:27], 0
.LBB7_516:                              ;   Parent Loop BB7_450 Depth=1
                                        ; =>  This Inner Loop Header: Depth=2
	s_sleep 1
	global_store_dwordx2 v[11:12], v[2:3], off
	v_mov_b32_e32 v0, s20
	v_mov_b32_e32 v1, s21
	s_waitcnt vmcnt(0)
	global_atomic_cmpswap_x2 v[0:1], v7, v[0:3], s[48:49] offset:32 glc
	s_waitcnt vmcnt(0)
	v_cmp_eq_u64_e32 vcc, v[0:1], v[2:3]
	v_mov_b32_e32 v3, v1
	s_or_b64 s[26:27], vcc, s[26:27]
	v_mov_b32_e32 v2, v0
	s_andn2_b64 exec, exec, s[26:27]
	s_cbranch_execnz .LBB7_516
.LBB7_517:                              ;   in Loop: Header=BB7_450 Depth=1
	s_or_b64 exec, exec, s[24:25]
	global_load_dwordx2 v[0:1], v7, s[48:49] offset:16
	s_mov_b64 s[26:27], exec
	v_mbcnt_lo_u32_b32 v2, s26, 0
	v_mbcnt_hi_u32_b32 v2, s27, v2
	v_cmp_eq_u32_e32 vcc, 0, v2
	s_and_saveexec_b64 s[24:25], vcc
	s_cbranch_execz .LBB7_519
; %bb.518:                              ;   in Loop: Header=BB7_450 Depth=1
	s_bcnt1_i32_b64 s15, s[26:27]
	v_mov_b32_e32 v6, s15
	s_waitcnt vmcnt(0)
	global_atomic_add_x2 v[0:1], v[6:7], off offset:8
.LBB7_519:                              ;   in Loop: Header=BB7_450 Depth=1
	s_or_b64 exec, exec, s[24:25]
	s_waitcnt vmcnt(0)
	global_load_dwordx2 v[2:3], v[0:1], off offset:16
	s_waitcnt vmcnt(0)
	v_cmp_eq_u64_e32 vcc, 0, v[2:3]
	s_cbranch_vccnz .LBB7_521
; %bb.520:                              ;   in Loop: Header=BB7_450 Depth=1
	global_load_dword v6, v[0:1], off offset:24
	s_waitcnt vmcnt(0)
	v_and_b32_e32 v0, 0xffffff, v6
	v_readfirstlane_b32 m0, v0
	global_store_dwordx2 v[2:3], v[6:7], off
	s_sendmsg sendmsg(MSG_INTERRUPT)
.LBB7_521:                              ;   in Loop: Header=BB7_450 Depth=1
	s_or_b64 exec, exec, s[22:23]
	v_add_co_u32_e32 v0, vcc, v29, v40
	v_addc_co_u32_e32 v1, vcc, 0, v30, vcc
	s_branch .LBB7_525
.LBB7_522:                              ;   in Loop: Header=BB7_525 Depth=2
	s_or_b64 exec, exec, s[22:23]
	v_readfirstlane_b32 s15, v2
	s_cmp_eq_u32 s15, 0
	s_cbranch_scc1 .LBB7_524
; %bb.523:                              ;   in Loop: Header=BB7_525 Depth=2
	s_sleep 1
	s_cbranch_execnz .LBB7_525
	s_branch .LBB7_527
.LBB7_524:                              ;   in Loop: Header=BB7_450 Depth=1
	s_branch .LBB7_527
.LBB7_525:                              ;   Parent Loop BB7_450 Depth=1
                                        ; =>  This Inner Loop Header: Depth=2
	v_mov_b32_e32 v2, 1
	s_and_saveexec_b64 s[22:23], s[4:5]
	s_cbranch_execz .LBB7_522
; %bb.526:                              ;   in Loop: Header=BB7_525 Depth=2
	global_load_dword v2, v[31:32], off offset:20 glc
	s_waitcnt vmcnt(0)
	buffer_wbinvl1_vol
	v_and_b32_e32 v2, 1, v2
	s_branch .LBB7_522
.LBB7_527:                              ;   in Loop: Header=BB7_450 Depth=1
	global_load_dwordx4 v[0:3], v[0:1], off
	s_and_saveexec_b64 s[22:23], s[4:5]
	s_cbranch_execz .LBB7_449
; %bb.528:                              ;   in Loop: Header=BB7_450 Depth=1
	global_load_dwordx2 v[2:3], v7, s[48:49] offset:40
	global_load_dwordx2 v[11:12], v7, s[48:49] offset:24 glc
	global_load_dwordx2 v[18:19], v7, s[48:49]
	v_mov_b32_e32 v6, s21
	s_waitcnt vmcnt(2)
	v_add_co_u32_e32 v17, vcc, 1, v2
	v_addc_co_u32_e32 v20, vcc, 0, v3, vcc
	v_add_co_u32_e32 v15, vcc, s20, v17
	v_addc_co_u32_e32 v16, vcc, v20, v6, vcc
	v_cmp_eq_u64_e32 vcc, 0, v[15:16]
	v_cndmask_b32_e32 v16, v16, v20, vcc
	v_cndmask_b32_e32 v15, v15, v17, vcc
	v_and_b32_e32 v3, v16, v3
	v_and_b32_e32 v2, v15, v2
	v_mul_lo_u32 v3, v3, 24
	v_mul_hi_u32 v6, v2, 24
	v_mul_lo_u32 v2, v2, 24
	s_waitcnt vmcnt(1)
	v_mov_b32_e32 v17, v11
	v_add_u32_e32 v3, v6, v3
	s_waitcnt vmcnt(0)
	v_add_co_u32_e32 v2, vcc, v18, v2
	v_addc_co_u32_e32 v3, vcc, v19, v3, vcc
	global_store_dwordx2 v[2:3], v[11:12], off
	v_mov_b32_e32 v18, v12
	s_waitcnt vmcnt(0)
	global_atomic_cmpswap_x2 v[17:18], v7, v[15:18], s[48:49] offset:24 glc
	s_waitcnt vmcnt(0)
	v_cmp_ne_u64_e32 vcc, v[17:18], v[11:12]
	s_and_b64 exec, exec, vcc
	s_cbranch_execz .LBB7_449
; %bb.529:                              ;   in Loop: Header=BB7_450 Depth=1
	s_mov_b64 s[4:5], 0
.LBB7_530:                              ;   Parent Loop BB7_450 Depth=1
                                        ; =>  This Inner Loop Header: Depth=2
	s_sleep 1
	global_store_dwordx2 v[2:3], v[17:18], off
	s_waitcnt vmcnt(0)
	global_atomic_cmpswap_x2 v[11:12], v7, v[15:18], s[48:49] offset:24 glc
	s_waitcnt vmcnt(0)
	v_cmp_eq_u64_e32 vcc, v[11:12], v[17:18]
	v_mov_b32_e32 v18, v12
	s_or_b64 s[4:5], vcc, s[4:5]
	v_mov_b32_e32 v17, v11
	s_andn2_b64 exec, exec, s[4:5]
	s_cbranch_execnz .LBB7_530
	s_branch .LBB7_449
.LBB7_531:
	s_branch .LBB7_559
.LBB7_532:
                                        ; implicit-def: $vgpr0_vgpr1
	s_cbranch_execz .LBB7_559
; %bb.533:
	v_readfirstlane_b32 s4, v44
	v_mov_b32_e32 v6, 0
	v_mov_b32_e32 v7, 0
	v_cmp_eq_u32_e64 s[4:5], s4, v44
	s_and_saveexec_b64 s[10:11], s[4:5]
	s_cbranch_execz .LBB7_539
; %bb.534:
	s_waitcnt vmcnt(0)
	v_mov_b32_e32 v0, 0
	global_load_dwordx2 v[13:14], v0, s[48:49] offset:24 glc
	s_waitcnt vmcnt(0)
	buffer_wbinvl1_vol
	global_load_dwordx2 v[1:2], v0, s[48:49] offset:40
	global_load_dwordx2 v[6:7], v0, s[48:49]
	s_waitcnt vmcnt(1)
	v_and_b32_e32 v1, v1, v13
	v_and_b32_e32 v2, v2, v14
	v_mul_lo_u32 v2, v2, 24
	v_mul_hi_u32 v3, v1, 24
	v_mul_lo_u32 v1, v1, 24
	v_add_u32_e32 v2, v3, v2
	s_waitcnt vmcnt(0)
	v_add_co_u32_e32 v1, vcc, v6, v1
	v_addc_co_u32_e32 v2, vcc, v7, v2, vcc
	global_load_dwordx2 v[11:12], v[1:2], off glc
	s_waitcnt vmcnt(0)
	global_atomic_cmpswap_x2 v[6:7], v0, v[11:14], s[48:49] offset:24 glc
	s_waitcnt vmcnt(0)
	buffer_wbinvl1_vol
	v_cmp_ne_u64_e32 vcc, v[6:7], v[13:14]
	s_and_saveexec_b64 s[16:17], vcc
	s_cbranch_execz .LBB7_538
; %bb.535:
	s_mov_b64 s[18:19], 0
.LBB7_536:                              ; =>This Inner Loop Header: Depth=1
	s_sleep 1
	global_load_dwordx2 v[1:2], v0, s[48:49] offset:40
	global_load_dwordx2 v[11:12], v0, s[48:49]
	v_mov_b32_e32 v14, v7
	v_mov_b32_e32 v13, v6
	s_waitcnt vmcnt(1)
	v_and_b32_e32 v1, v1, v13
	s_waitcnt vmcnt(0)
	v_mad_u64_u32 v[6:7], s[20:21], v1, 24, v[11:12]
	v_and_b32_e32 v2, v2, v14
	v_mov_b32_e32 v1, v7
	v_mad_u64_u32 v[1:2], s[20:21], v2, 24, v[1:2]
	v_mov_b32_e32 v7, v1
	global_load_dwordx2 v[11:12], v[6:7], off glc
	s_waitcnt vmcnt(0)
	global_atomic_cmpswap_x2 v[6:7], v0, v[11:14], s[48:49] offset:24 glc
	s_waitcnt vmcnt(0)
	buffer_wbinvl1_vol
	v_cmp_eq_u64_e32 vcc, v[6:7], v[13:14]
	s_or_b64 s[18:19], vcc, s[18:19]
	s_andn2_b64 exec, exec, s[18:19]
	s_cbranch_execnz .LBB7_536
; %bb.537:
	s_or_b64 exec, exec, s[18:19]
.LBB7_538:
	s_or_b64 exec, exec, s[16:17]
.LBB7_539:
	s_or_b64 exec, exec, s[10:11]
	v_mov_b32_e32 v11, 0
	global_load_dwordx2 v[12:13], v11, s[48:49] offset:40
	global_load_dwordx4 v[0:3], v11, s[48:49]
	v_readfirstlane_b32 s10, v6
	v_readfirstlane_b32 s11, v7
	s_mov_b64 s[16:17], exec
	s_waitcnt vmcnt(1)
	v_readfirstlane_b32 s18, v12
	v_readfirstlane_b32 s19, v13
	s_and_b64 s[18:19], s[10:11], s[18:19]
	s_mul_i32 s15, s19, 24
	s_mul_hi_u32 s20, s18, 24
	s_mul_i32 s21, s18, 24
	s_add_i32 s15, s20, s15
	v_mov_b32_e32 v7, s15
	s_waitcnt vmcnt(0)
	v_add_co_u32_e32 v6, vcc, s21, v0
	v_addc_co_u32_e32 v7, vcc, v1, v7, vcc
	s_and_saveexec_b64 s[20:21], s[4:5]
	s_cbranch_execz .LBB7_541
; %bb.540:
	v_mov_b32_e32 v12, s16
	v_mov_b32_e32 v13, s17
	;; [unrolled: 1-line block ×4, first 2 shown]
	global_store_dwordx4 v[6:7], v[12:15], off offset:8
.LBB7_541:
	s_or_b64 exec, exec, s[20:21]
	s_lshl_b64 s[16:17], s[18:19], 12
	v_mov_b32_e32 v12, s17
	v_add_co_u32_e32 v2, vcc, s16, v2
	v_addc_co_u32_e32 v3, vcc, v3, v12, vcc
	s_movk_i32 s15, 0xff1f
	v_and_or_b32 v9, v9, s15, 32
	s_mov_b32 s16, 0
	v_mov_b32_e32 v12, v11
	v_readfirstlane_b32 s20, v2
	v_readfirstlane_b32 s21, v3
	v_add_co_u32_e32 v13, vcc, v2, v40
	s_mov_b32 s17, s16
	s_mov_b32 s18, s16
	;; [unrolled: 1-line block ×3, first 2 shown]
	s_nop 0
	global_store_dwordx4 v40, v[9:12], s[20:21]
	v_addc_co_u32_e32 v14, vcc, 0, v3, vcc
	v_mov_b32_e32 v9, s16
	v_mov_b32_e32 v10, s17
	;; [unrolled: 1-line block ×4, first 2 shown]
	global_store_dwordx4 v40, v[9:12], s[20:21] offset:16
	global_store_dwordx4 v40, v[9:12], s[20:21] offset:32
	;; [unrolled: 1-line block ×3, first 2 shown]
	s_and_saveexec_b64 s[16:17], s[4:5]
	s_cbranch_execz .LBB7_549
; %bb.542:
	v_mov_b32_e32 v11, 0
	global_load_dwordx2 v[17:18], v11, s[48:49] offset:32 glc
	global_load_dwordx2 v[2:3], v11, s[48:49] offset:40
	v_mov_b32_e32 v15, s10
	v_mov_b32_e32 v16, s11
	s_waitcnt vmcnt(0)
	v_readfirstlane_b32 s18, v2
	v_readfirstlane_b32 s19, v3
	s_and_b64 s[18:19], s[18:19], s[10:11]
	s_mul_i32 s15, s19, 24
	s_mul_hi_u32 s19, s18, 24
	s_mul_i32 s18, s18, 24
	s_add_i32 s15, s19, s15
	v_mov_b32_e32 v2, s15
	v_add_co_u32_e32 v9, vcc, s18, v0
	v_addc_co_u32_e32 v10, vcc, v1, v2, vcc
	global_store_dwordx2 v[9:10], v[17:18], off
	s_waitcnt vmcnt(0)
	global_atomic_cmpswap_x2 v[2:3], v11, v[15:18], s[48:49] offset:32 glc
	s_waitcnt vmcnt(0)
	v_cmp_ne_u64_e32 vcc, v[2:3], v[17:18]
	s_and_saveexec_b64 s[18:19], vcc
	s_cbranch_execz .LBB7_545
; %bb.543:
	s_mov_b64 s[20:21], 0
.LBB7_544:                              ; =>This Inner Loop Header: Depth=1
	s_sleep 1
	global_store_dwordx2 v[9:10], v[2:3], off
	v_mov_b32_e32 v0, s10
	v_mov_b32_e32 v1, s11
	s_waitcnt vmcnt(0)
	global_atomic_cmpswap_x2 v[0:1], v11, v[0:3], s[48:49] offset:32 glc
	s_waitcnt vmcnt(0)
	v_cmp_eq_u64_e32 vcc, v[0:1], v[2:3]
	v_mov_b32_e32 v3, v1
	s_or_b64 s[20:21], vcc, s[20:21]
	v_mov_b32_e32 v2, v0
	s_andn2_b64 exec, exec, s[20:21]
	s_cbranch_execnz .LBB7_544
.LBB7_545:
	s_or_b64 exec, exec, s[18:19]
	v_mov_b32_e32 v3, 0
	global_load_dwordx2 v[0:1], v3, s[48:49] offset:16
	s_mov_b64 s[18:19], exec
	v_mbcnt_lo_u32_b32 v2, s18, 0
	v_mbcnt_hi_u32_b32 v2, s19, v2
	v_cmp_eq_u32_e32 vcc, 0, v2
	s_and_saveexec_b64 s[20:21], vcc
	s_cbranch_execz .LBB7_547
; %bb.546:
	s_bcnt1_i32_b64 s15, s[18:19]
	v_mov_b32_e32 v2, s15
	s_waitcnt vmcnt(0)
	global_atomic_add_x2 v[0:1], v[2:3], off offset:8
.LBB7_547:
	s_or_b64 exec, exec, s[20:21]
	s_waitcnt vmcnt(0)
	global_load_dwordx2 v[2:3], v[0:1], off offset:16
	s_waitcnt vmcnt(0)
	v_cmp_eq_u64_e32 vcc, 0, v[2:3]
	s_cbranch_vccnz .LBB7_549
; %bb.548:
	global_load_dword v0, v[0:1], off offset:24
	v_mov_b32_e32 v1, 0
	s_waitcnt vmcnt(0)
	global_store_dwordx2 v[2:3], v[0:1], off
	v_and_b32_e32 v0, 0xffffff, v0
	v_readfirstlane_b32 m0, v0
	s_sendmsg sendmsg(MSG_INTERRUPT)
.LBB7_549:
	s_or_b64 exec, exec, s[16:17]
	s_branch .LBB7_553
.LBB7_550:                              ;   in Loop: Header=BB7_553 Depth=1
	s_or_b64 exec, exec, s[16:17]
	v_readfirstlane_b32 s15, v0
	s_cmp_eq_u32 s15, 0
	s_cbranch_scc1 .LBB7_552
; %bb.551:                              ;   in Loop: Header=BB7_553 Depth=1
	s_sleep 1
	s_cbranch_execnz .LBB7_553
	s_branch .LBB7_555
.LBB7_552:
	s_branch .LBB7_555
.LBB7_553:                              ; =>This Inner Loop Header: Depth=1
	v_mov_b32_e32 v0, 1
	s_and_saveexec_b64 s[16:17], s[4:5]
	s_cbranch_execz .LBB7_550
; %bb.554:                              ;   in Loop: Header=BB7_553 Depth=1
	global_load_dword v0, v[6:7], off offset:20 glc
	s_waitcnt vmcnt(0)
	buffer_wbinvl1_vol
	v_and_b32_e32 v0, 1, v0
	s_branch .LBB7_550
.LBB7_555:
	global_load_dwordx2 v[0:1], v[13:14], off
	s_and_saveexec_b64 s[16:17], s[4:5]
	s_cbranch_execz .LBB7_558
; %bb.556:
	v_mov_b32_e32 v6, 0
	global_load_dwordx2 v[2:3], v6, s[48:49] offset:40
	global_load_dwordx2 v[13:14], v6, s[48:49] offset:24 glc
	global_load_dwordx2 v[15:16], v6, s[48:49]
	v_mov_b32_e32 v7, s11
	s_mov_b64 s[4:5], 0
	s_waitcnt vmcnt(2)
	v_add_co_u32_e32 v11, vcc, 1, v2
	v_addc_co_u32_e32 v12, vcc, 0, v3, vcc
	v_add_co_u32_e32 v9, vcc, s10, v11
	v_addc_co_u32_e32 v10, vcc, v12, v7, vcc
	v_cmp_eq_u64_e32 vcc, 0, v[9:10]
	v_cndmask_b32_e32 v10, v10, v12, vcc
	v_cndmask_b32_e32 v9, v9, v11, vcc
	v_and_b32_e32 v3, v10, v3
	v_and_b32_e32 v2, v9, v2
	v_mul_lo_u32 v3, v3, 24
	v_mul_hi_u32 v7, v2, 24
	v_mul_lo_u32 v2, v2, 24
	s_waitcnt vmcnt(1)
	v_mov_b32_e32 v11, v13
	v_mov_b32_e32 v12, v14
	v_add_u32_e32 v3, v7, v3
	s_waitcnt vmcnt(0)
	v_add_co_u32_e32 v2, vcc, v15, v2
	v_addc_co_u32_e32 v3, vcc, v16, v3, vcc
	global_store_dwordx2 v[2:3], v[13:14], off
	s_waitcnt vmcnt(0)
	global_atomic_cmpswap_x2 v[11:12], v6, v[9:12], s[48:49] offset:24 glc
	s_waitcnt vmcnt(0)
	v_cmp_ne_u64_e32 vcc, v[11:12], v[13:14]
	s_and_b64 exec, exec, vcc
	s_cbranch_execz .LBB7_558
.LBB7_557:                              ; =>This Inner Loop Header: Depth=1
	s_sleep 1
	global_store_dwordx2 v[2:3], v[11:12], off
	s_waitcnt vmcnt(0)
	global_atomic_cmpswap_x2 v[13:14], v6, v[9:12], s[48:49] offset:24 glc
	s_waitcnt vmcnt(0)
	v_cmp_eq_u64_e32 vcc, v[13:14], v[11:12]
	v_mov_b32_e32 v11, v13
	s_or_b64 s[4:5], vcc, s[4:5]
	v_mov_b32_e32 v12, v14
	s_andn2_b64 exec, exec, s[4:5]
	s_cbranch_execnz .LBB7_557
.LBB7_558:
	s_or_b64 exec, exec, s[16:17]
.LBB7_559:
	s_getpc_b64 s[10:11]
	s_add_u32 s10, s10, .str.1@rel32@lo+4
	s_addc_u32 s11, s11, .str.1@rel32@hi+12
	s_cmp_lg_u64 s[10:11], 0
	s_cbranch_scc0 .LBB7_644
; %bb.560:
	s_waitcnt vmcnt(0)
	v_and_b32_e32 v13, -3, v0
	v_mov_b32_e32 v14, v1
	s_mov_b64 s[16:17], 0x53
	v_mov_b32_e32 v3, 0
	v_mov_b32_e32 v11, 2
	;; [unrolled: 1-line block ×3, first 2 shown]
	s_branch .LBB7_562
.LBB7_561:                              ;   in Loop: Header=BB7_562 Depth=1
	s_or_b64 exec, exec, s[22:23]
	s_sub_u32 s16, s16, s18
	s_subb_u32 s17, s17, s19
	s_add_u32 s10, s10, s18
	s_addc_u32 s11, s11, s19
	s_cmp_lg_u64 s[16:17], 0
	s_cbranch_scc0 .LBB7_643
.LBB7_562:                              ; =>This Loop Header: Depth=1
                                        ;     Child Loop BB7_565 Depth 2
                                        ;     Child Loop BB7_572 Depth 2
	;; [unrolled: 1-line block ×11, first 2 shown]
	v_cmp_lt_u64_e64 s[4:5], s[16:17], 56
	v_cmp_gt_u64_e64 s[20:21], s[16:17], 7
	s_and_b64 s[4:5], s[4:5], exec
	s_cselect_b32 s19, s17, 0
	s_cselect_b32 s18, s16, 56
	s_and_b64 vcc, exec, s[20:21]
	s_cbranch_vccnz .LBB7_567
; %bb.563:                              ;   in Loop: Header=BB7_562 Depth=1
	s_waitcnt vmcnt(0)
	v_mov_b32_e32 v15, 0
	s_cmp_eq_u64 s[16:17], 0
	v_mov_b32_e32 v16, 0
	s_mov_b64 s[4:5], 0
	s_cbranch_scc1 .LBB7_566
; %bb.564:                              ;   in Loop: Header=BB7_562 Depth=1
	v_mov_b32_e32 v15, 0
	s_lshl_b64 s[20:21], s[18:19], 3
	s_mov_b64 s[22:23], 0
	v_mov_b32_e32 v16, 0
	s_mov_b64 s[24:25], s[10:11]
.LBB7_565:                              ;   Parent Loop BB7_562 Depth=1
                                        ; =>  This Inner Loop Header: Depth=2
	global_load_ubyte v2, v3, s[24:25]
	s_waitcnt vmcnt(0)
	v_and_b32_e32 v2, 0xffff, v2
	v_lshlrev_b64 v[6:7], s22, v[2:3]
	s_add_u32 s22, s22, 8
	s_addc_u32 s23, s23, 0
	s_add_u32 s24, s24, 1
	s_addc_u32 s25, s25, 0
	v_or_b32_e32 v15, v6, v15
	s_cmp_lg_u32 s20, s22
	v_or_b32_e32 v16, v7, v16
	s_cbranch_scc1 .LBB7_565
.LBB7_566:                              ;   in Loop: Header=BB7_562 Depth=1
	s_mov_b32 s15, 0
	s_andn2_b64 vcc, exec, s[4:5]
	s_mov_b64 s[4:5], s[10:11]
	s_cbranch_vccz .LBB7_568
	s_branch .LBB7_569
.LBB7_567:                              ;   in Loop: Header=BB7_562 Depth=1
                                        ; implicit-def: $sgpr15
	s_mov_b64 s[4:5], s[10:11]
.LBB7_568:                              ;   in Loop: Header=BB7_562 Depth=1
	global_load_dwordx2 v[15:16], v3, s[10:11]
	s_add_i32 s15, s18, -8
	s_add_u32 s4, s10, 8
	s_addc_u32 s5, s11, 0
.LBB7_569:                              ;   in Loop: Header=BB7_562 Depth=1
	s_cmp_gt_u32 s15, 7
	s_cbranch_scc1 .LBB7_573
; %bb.570:                              ;   in Loop: Header=BB7_562 Depth=1
	s_cmp_eq_u32 s15, 0
	s_cbranch_scc1 .LBB7_574
; %bb.571:                              ;   in Loop: Header=BB7_562 Depth=1
	v_mov_b32_e32 v17, 0
	s_mov_b64 s[20:21], 0
	v_mov_b32_e32 v18, 0
	s_mov_b64 s[22:23], 0
.LBB7_572:                              ;   Parent Loop BB7_562 Depth=1
                                        ; =>  This Inner Loop Header: Depth=2
	s_add_u32 s24, s4, s22
	s_addc_u32 s25, s5, s23
	global_load_ubyte v2, v3, s[24:25]
	s_add_u32 s22, s22, 1
	s_addc_u32 s23, s23, 0
	s_waitcnt vmcnt(0)
	v_and_b32_e32 v2, 0xffff, v2
	v_lshlrev_b64 v[6:7], s20, v[2:3]
	s_add_u32 s20, s20, 8
	s_addc_u32 s21, s21, 0
	v_or_b32_e32 v17, v6, v17
	s_cmp_lg_u32 s15, s22
	v_or_b32_e32 v18, v7, v18
	s_cbranch_scc1 .LBB7_572
	s_branch .LBB7_575
.LBB7_573:                              ;   in Loop: Header=BB7_562 Depth=1
                                        ; implicit-def: $vgpr17_vgpr18
                                        ; implicit-def: $sgpr24
	s_branch .LBB7_576
.LBB7_574:                              ;   in Loop: Header=BB7_562 Depth=1
	v_mov_b32_e32 v17, 0
	v_mov_b32_e32 v18, 0
.LBB7_575:                              ;   in Loop: Header=BB7_562 Depth=1
	s_mov_b32 s24, 0
	s_cbranch_execnz .LBB7_577
.LBB7_576:                              ;   in Loop: Header=BB7_562 Depth=1
	global_load_dwordx2 v[17:18], v3, s[4:5]
	s_add_i32 s24, s15, -8
	s_add_u32 s4, s4, 8
	s_addc_u32 s5, s5, 0
.LBB7_577:                              ;   in Loop: Header=BB7_562 Depth=1
	s_cmp_gt_u32 s24, 7
	s_cbranch_scc1 .LBB7_581
; %bb.578:                              ;   in Loop: Header=BB7_562 Depth=1
	s_cmp_eq_u32 s24, 0
	s_cbranch_scc1 .LBB7_582
; %bb.579:                              ;   in Loop: Header=BB7_562 Depth=1
	v_mov_b32_e32 v19, 0
	s_mov_b64 s[20:21], 0
	v_mov_b32_e32 v20, 0
	s_mov_b64 s[22:23], 0
.LBB7_580:                              ;   Parent Loop BB7_562 Depth=1
                                        ; =>  This Inner Loop Header: Depth=2
	s_add_u32 s26, s4, s22
	s_addc_u32 s27, s5, s23
	global_load_ubyte v2, v3, s[26:27]
	s_add_u32 s22, s22, 1
	s_addc_u32 s23, s23, 0
	s_waitcnt vmcnt(0)
	v_and_b32_e32 v2, 0xffff, v2
	v_lshlrev_b64 v[6:7], s20, v[2:3]
	s_add_u32 s20, s20, 8
	s_addc_u32 s21, s21, 0
	v_or_b32_e32 v19, v6, v19
	s_cmp_lg_u32 s24, s22
	v_or_b32_e32 v20, v7, v20
	s_cbranch_scc1 .LBB7_580
	s_branch .LBB7_583
.LBB7_581:                              ;   in Loop: Header=BB7_562 Depth=1
                                        ; implicit-def: $sgpr15
	s_branch .LBB7_584
.LBB7_582:                              ;   in Loop: Header=BB7_562 Depth=1
	v_mov_b32_e32 v19, 0
	v_mov_b32_e32 v20, 0
.LBB7_583:                              ;   in Loop: Header=BB7_562 Depth=1
	s_mov_b32 s15, 0
	s_cbranch_execnz .LBB7_585
.LBB7_584:                              ;   in Loop: Header=BB7_562 Depth=1
	global_load_dwordx2 v[19:20], v3, s[4:5]
	s_add_i32 s15, s24, -8
	s_add_u32 s4, s4, 8
	s_addc_u32 s5, s5, 0
.LBB7_585:                              ;   in Loop: Header=BB7_562 Depth=1
	s_cmp_gt_u32 s15, 7
	s_cbranch_scc1 .LBB7_589
; %bb.586:                              ;   in Loop: Header=BB7_562 Depth=1
	s_cmp_eq_u32 s15, 0
	s_cbranch_scc1 .LBB7_590
; %bb.587:                              ;   in Loop: Header=BB7_562 Depth=1
	v_mov_b32_e32 v21, 0
	s_mov_b64 s[20:21], 0
	v_mov_b32_e32 v22, 0
	s_mov_b64 s[22:23], 0
.LBB7_588:                              ;   Parent Loop BB7_562 Depth=1
                                        ; =>  This Inner Loop Header: Depth=2
	s_add_u32 s24, s4, s22
	s_addc_u32 s25, s5, s23
	global_load_ubyte v2, v3, s[24:25]
	s_add_u32 s22, s22, 1
	s_addc_u32 s23, s23, 0
	s_waitcnt vmcnt(0)
	v_and_b32_e32 v2, 0xffff, v2
	v_lshlrev_b64 v[6:7], s20, v[2:3]
	s_add_u32 s20, s20, 8
	s_addc_u32 s21, s21, 0
	v_or_b32_e32 v21, v6, v21
	s_cmp_lg_u32 s15, s22
	v_or_b32_e32 v22, v7, v22
	s_cbranch_scc1 .LBB7_588
	s_branch .LBB7_591
.LBB7_589:                              ;   in Loop: Header=BB7_562 Depth=1
                                        ; implicit-def: $vgpr21_vgpr22
                                        ; implicit-def: $sgpr24
	s_branch .LBB7_592
.LBB7_590:                              ;   in Loop: Header=BB7_562 Depth=1
	v_mov_b32_e32 v21, 0
	v_mov_b32_e32 v22, 0
.LBB7_591:                              ;   in Loop: Header=BB7_562 Depth=1
	s_mov_b32 s24, 0
	s_cbranch_execnz .LBB7_593
.LBB7_592:                              ;   in Loop: Header=BB7_562 Depth=1
	global_load_dwordx2 v[21:22], v3, s[4:5]
	s_add_i32 s24, s15, -8
	s_add_u32 s4, s4, 8
	s_addc_u32 s5, s5, 0
.LBB7_593:                              ;   in Loop: Header=BB7_562 Depth=1
	s_cmp_gt_u32 s24, 7
	s_cbranch_scc1 .LBB7_597
; %bb.594:                              ;   in Loop: Header=BB7_562 Depth=1
	s_cmp_eq_u32 s24, 0
	s_cbranch_scc1 .LBB7_598
; %bb.595:                              ;   in Loop: Header=BB7_562 Depth=1
	v_mov_b32_e32 v23, 0
	s_mov_b64 s[20:21], 0
	v_mov_b32_e32 v24, 0
	s_mov_b64 s[22:23], 0
.LBB7_596:                              ;   Parent Loop BB7_562 Depth=1
                                        ; =>  This Inner Loop Header: Depth=2
	s_add_u32 s26, s4, s22
	s_addc_u32 s27, s5, s23
	global_load_ubyte v2, v3, s[26:27]
	s_add_u32 s22, s22, 1
	s_addc_u32 s23, s23, 0
	s_waitcnt vmcnt(0)
	v_and_b32_e32 v2, 0xffff, v2
	v_lshlrev_b64 v[6:7], s20, v[2:3]
	s_add_u32 s20, s20, 8
	s_addc_u32 s21, s21, 0
	v_or_b32_e32 v23, v6, v23
	s_cmp_lg_u32 s24, s22
	v_or_b32_e32 v24, v7, v24
	s_cbranch_scc1 .LBB7_596
	s_branch .LBB7_599
.LBB7_597:                              ;   in Loop: Header=BB7_562 Depth=1
                                        ; implicit-def: $sgpr15
	s_branch .LBB7_600
.LBB7_598:                              ;   in Loop: Header=BB7_562 Depth=1
	v_mov_b32_e32 v23, 0
	v_mov_b32_e32 v24, 0
.LBB7_599:                              ;   in Loop: Header=BB7_562 Depth=1
	s_mov_b32 s15, 0
	s_cbranch_execnz .LBB7_601
.LBB7_600:                              ;   in Loop: Header=BB7_562 Depth=1
	global_load_dwordx2 v[23:24], v3, s[4:5]
	s_add_i32 s15, s24, -8
	s_add_u32 s4, s4, 8
	s_addc_u32 s5, s5, 0
.LBB7_601:                              ;   in Loop: Header=BB7_562 Depth=1
	s_cmp_gt_u32 s15, 7
	s_cbranch_scc1 .LBB7_605
; %bb.602:                              ;   in Loop: Header=BB7_562 Depth=1
	s_cmp_eq_u32 s15, 0
	s_cbranch_scc1 .LBB7_606
; %bb.603:                              ;   in Loop: Header=BB7_562 Depth=1
	v_mov_b32_e32 v25, 0
	s_mov_b64 s[20:21], 0
	v_mov_b32_e32 v26, 0
	s_mov_b64 s[22:23], 0
.LBB7_604:                              ;   Parent Loop BB7_562 Depth=1
                                        ; =>  This Inner Loop Header: Depth=2
	s_add_u32 s24, s4, s22
	s_addc_u32 s25, s5, s23
	global_load_ubyte v2, v3, s[24:25]
	s_add_u32 s22, s22, 1
	s_addc_u32 s23, s23, 0
	s_waitcnt vmcnt(0)
	v_and_b32_e32 v2, 0xffff, v2
	v_lshlrev_b64 v[6:7], s20, v[2:3]
	s_add_u32 s20, s20, 8
	s_addc_u32 s21, s21, 0
	v_or_b32_e32 v25, v6, v25
	s_cmp_lg_u32 s15, s22
	v_or_b32_e32 v26, v7, v26
	s_cbranch_scc1 .LBB7_604
	s_branch .LBB7_607
.LBB7_605:                              ;   in Loop: Header=BB7_562 Depth=1
                                        ; implicit-def: $vgpr25_vgpr26
                                        ; implicit-def: $sgpr24
	s_branch .LBB7_608
.LBB7_606:                              ;   in Loop: Header=BB7_562 Depth=1
	v_mov_b32_e32 v25, 0
	v_mov_b32_e32 v26, 0
.LBB7_607:                              ;   in Loop: Header=BB7_562 Depth=1
	s_mov_b32 s24, 0
	s_cbranch_execnz .LBB7_609
.LBB7_608:                              ;   in Loop: Header=BB7_562 Depth=1
	global_load_dwordx2 v[25:26], v3, s[4:5]
	s_add_i32 s24, s15, -8
	s_add_u32 s4, s4, 8
	s_addc_u32 s5, s5, 0
.LBB7_609:                              ;   in Loop: Header=BB7_562 Depth=1
	s_cmp_gt_u32 s24, 7
	s_cbranch_scc1 .LBB7_613
; %bb.610:                              ;   in Loop: Header=BB7_562 Depth=1
	s_cmp_eq_u32 s24, 0
	s_cbranch_scc1 .LBB7_614
; %bb.611:                              ;   in Loop: Header=BB7_562 Depth=1
	v_mov_b32_e32 v27, 0
	s_mov_b64 s[20:21], 0
	v_mov_b32_e32 v28, 0
	s_mov_b64 s[22:23], s[4:5]
.LBB7_612:                              ;   Parent Loop BB7_562 Depth=1
                                        ; =>  This Inner Loop Header: Depth=2
	global_load_ubyte v2, v3, s[22:23]
	s_add_i32 s24, s24, -1
	s_waitcnt vmcnt(0)
	v_and_b32_e32 v2, 0xffff, v2
	v_lshlrev_b64 v[6:7], s20, v[2:3]
	s_add_u32 s20, s20, 8
	s_addc_u32 s21, s21, 0
	s_add_u32 s22, s22, 1
	s_addc_u32 s23, s23, 0
	v_or_b32_e32 v27, v6, v27
	s_cmp_lg_u32 s24, 0
	v_or_b32_e32 v28, v7, v28
	s_cbranch_scc1 .LBB7_612
	s_branch .LBB7_615
.LBB7_613:                              ;   in Loop: Header=BB7_562 Depth=1
	s_branch .LBB7_616
.LBB7_614:                              ;   in Loop: Header=BB7_562 Depth=1
	v_mov_b32_e32 v27, 0
	v_mov_b32_e32 v28, 0
.LBB7_615:                              ;   in Loop: Header=BB7_562 Depth=1
	s_cbranch_execnz .LBB7_617
.LBB7_616:                              ;   in Loop: Header=BB7_562 Depth=1
	global_load_dwordx2 v[27:28], v3, s[4:5]
.LBB7_617:                              ;   in Loop: Header=BB7_562 Depth=1
	v_readfirstlane_b32 s4, v44
	v_mov_b32_e32 v6, 0
	v_mov_b32_e32 v7, 0
	v_cmp_eq_u32_e64 s[4:5], s4, v44
	s_and_saveexec_b64 s[20:21], s[4:5]
	s_cbranch_execz .LBB7_623
; %bb.618:                              ;   in Loop: Header=BB7_562 Depth=1
	global_load_dwordx2 v[31:32], v3, s[48:49] offset:24 glc
	s_waitcnt vmcnt(0)
	buffer_wbinvl1_vol
	global_load_dwordx2 v[6:7], v3, s[48:49] offset:40
	global_load_dwordx2 v[9:10], v3, s[48:49]
	s_waitcnt vmcnt(1)
	v_and_b32_e32 v2, v6, v31
	v_and_b32_e32 v6, v7, v32
	v_mul_lo_u32 v6, v6, 24
	v_mul_hi_u32 v7, v2, 24
	v_mul_lo_u32 v2, v2, 24
	v_add_u32_e32 v7, v7, v6
	s_waitcnt vmcnt(0)
	v_add_co_u32_e32 v6, vcc, v9, v2
	v_addc_co_u32_e32 v7, vcc, v10, v7, vcc
	global_load_dwordx2 v[29:30], v[6:7], off glc
	s_waitcnt vmcnt(0)
	global_atomic_cmpswap_x2 v[6:7], v3, v[29:32], s[48:49] offset:24 glc
	s_waitcnt vmcnt(0)
	buffer_wbinvl1_vol
	v_cmp_ne_u64_e32 vcc, v[6:7], v[31:32]
	s_and_saveexec_b64 s[22:23], vcc
	s_cbranch_execz .LBB7_622
; %bb.619:                              ;   in Loop: Header=BB7_562 Depth=1
	s_mov_b64 s[24:25], 0
.LBB7_620:                              ;   Parent Loop BB7_562 Depth=1
                                        ; =>  This Inner Loop Header: Depth=2
	s_sleep 1
	global_load_dwordx2 v[9:10], v3, s[48:49] offset:40
	global_load_dwordx2 v[29:30], v3, s[48:49]
	v_mov_b32_e32 v32, v7
	v_mov_b32_e32 v31, v6
	s_waitcnt vmcnt(1)
	v_and_b32_e32 v2, v9, v31
	s_waitcnt vmcnt(0)
	v_mad_u64_u32 v[6:7], s[26:27], v2, 24, v[29:30]
	v_and_b32_e32 v9, v10, v32
	v_mov_b32_e32 v2, v7
	v_mad_u64_u32 v[9:10], s[26:27], v9, 24, v[2:3]
	v_mov_b32_e32 v7, v9
	global_load_dwordx2 v[29:30], v[6:7], off glc
	s_waitcnt vmcnt(0)
	global_atomic_cmpswap_x2 v[6:7], v3, v[29:32], s[48:49] offset:24 glc
	s_waitcnt vmcnt(0)
	buffer_wbinvl1_vol
	v_cmp_eq_u64_e32 vcc, v[6:7], v[31:32]
	s_or_b64 s[24:25], vcc, s[24:25]
	s_andn2_b64 exec, exec, s[24:25]
	s_cbranch_execnz .LBB7_620
; %bb.621:                              ;   in Loop: Header=BB7_562 Depth=1
	s_or_b64 exec, exec, s[24:25]
.LBB7_622:                              ;   in Loop: Header=BB7_562 Depth=1
	s_or_b64 exec, exec, s[22:23]
.LBB7_623:                              ;   in Loop: Header=BB7_562 Depth=1
	s_or_b64 exec, exec, s[20:21]
	global_load_dwordx2 v[9:10], v3, s[48:49] offset:40
	global_load_dwordx4 v[29:32], v3, s[48:49]
	v_readfirstlane_b32 s20, v6
	v_readfirstlane_b32 s21, v7
	s_mov_b64 s[22:23], exec
	s_waitcnt vmcnt(1)
	v_readfirstlane_b32 s24, v9
	v_readfirstlane_b32 s25, v10
	s_and_b64 s[24:25], s[20:21], s[24:25]
	s_mul_i32 s15, s25, 24
	s_mul_hi_u32 s26, s24, 24
	s_mul_i32 s27, s24, 24
	s_add_i32 s15, s26, s15
	v_mov_b32_e32 v2, s15
	s_waitcnt vmcnt(0)
	v_add_co_u32_e32 v6, vcc, s27, v29
	v_addc_co_u32_e32 v7, vcc, v30, v2, vcc
	s_and_saveexec_b64 s[26:27], s[4:5]
	s_cbranch_execz .LBB7_625
; %bb.624:                              ;   in Loop: Header=BB7_562 Depth=1
	v_mov_b32_e32 v9, s22
	v_mov_b32_e32 v10, s23
	global_store_dwordx4 v[6:7], v[9:12], off offset:8
.LBB7_625:                              ;   in Loop: Header=BB7_562 Depth=1
	s_or_b64 exec, exec, s[26:27]
	s_lshl_b64 s[22:23], s[24:25], 12
	v_mov_b32_e32 v2, s23
	v_add_co_u32_e32 v31, vcc, s22, v31
	v_addc_co_u32_e32 v32, vcc, v32, v2, vcc
	v_cmp_gt_u64_e64 vcc, s[16:17], 56
	v_or_b32_e32 v2, 2, v13
	s_lshl_b32 s15, s18, 2
	v_cndmask_b32_e32 v2, v2, v13, vcc
	s_add_i32 s15, s15, 28
	s_and_b32 s15, s15, 0x1e0
	v_and_b32_e32 v2, 0xffffff1f, v2
	v_or_b32_e32 v13, s15, v2
	v_readfirstlane_b32 s22, v31
	v_readfirstlane_b32 s23, v32
	s_nop 4
	global_store_dwordx4 v40, v[13:16], s[22:23]
	global_store_dwordx4 v40, v[17:20], s[22:23] offset:16
	global_store_dwordx4 v40, v[21:24], s[22:23] offset:32
	;; [unrolled: 1-line block ×3, first 2 shown]
	s_and_saveexec_b64 s[22:23], s[4:5]
	s_cbranch_execz .LBB7_633
; %bb.626:                              ;   in Loop: Header=BB7_562 Depth=1
	global_load_dwordx2 v[17:18], v3, s[48:49] offset:32 glc
	global_load_dwordx2 v[9:10], v3, s[48:49] offset:40
	v_mov_b32_e32 v15, s20
	v_mov_b32_e32 v16, s21
	s_waitcnt vmcnt(0)
	v_readfirstlane_b32 s24, v9
	v_readfirstlane_b32 s25, v10
	s_and_b64 s[24:25], s[24:25], s[20:21]
	s_mul_i32 s15, s25, 24
	s_mul_hi_u32 s25, s24, 24
	s_mul_i32 s24, s24, 24
	s_add_i32 s15, s25, s15
	v_mov_b32_e32 v2, s15
	v_add_co_u32_e32 v9, vcc, s24, v29
	v_addc_co_u32_e32 v10, vcc, v30, v2, vcc
	global_store_dwordx2 v[9:10], v[17:18], off
	s_waitcnt vmcnt(0)
	global_atomic_cmpswap_x2 v[15:16], v3, v[15:18], s[48:49] offset:32 glc
	s_waitcnt vmcnt(0)
	v_cmp_ne_u64_e32 vcc, v[15:16], v[17:18]
	s_and_saveexec_b64 s[24:25], vcc
	s_cbranch_execz .LBB7_629
; %bb.627:                              ;   in Loop: Header=BB7_562 Depth=1
	s_mov_b64 s[26:27], 0
.LBB7_628:                              ;   Parent Loop BB7_562 Depth=1
                                        ; =>  This Inner Loop Header: Depth=2
	s_sleep 1
	global_store_dwordx2 v[9:10], v[15:16], off
	v_mov_b32_e32 v13, s20
	v_mov_b32_e32 v14, s21
	s_waitcnt vmcnt(0)
	global_atomic_cmpswap_x2 v[13:14], v3, v[13:16], s[48:49] offset:32 glc
	s_waitcnt vmcnt(0)
	v_cmp_eq_u64_e32 vcc, v[13:14], v[15:16]
	v_mov_b32_e32 v16, v14
	s_or_b64 s[26:27], vcc, s[26:27]
	v_mov_b32_e32 v15, v13
	s_andn2_b64 exec, exec, s[26:27]
	s_cbranch_execnz .LBB7_628
.LBB7_629:                              ;   in Loop: Header=BB7_562 Depth=1
	s_or_b64 exec, exec, s[24:25]
	global_load_dwordx2 v[9:10], v3, s[48:49] offset:16
	s_mov_b64 s[26:27], exec
	v_mbcnt_lo_u32_b32 v2, s26, 0
	v_mbcnt_hi_u32_b32 v2, s27, v2
	v_cmp_eq_u32_e32 vcc, 0, v2
	s_and_saveexec_b64 s[24:25], vcc
	s_cbranch_execz .LBB7_631
; %bb.630:                              ;   in Loop: Header=BB7_562 Depth=1
	s_bcnt1_i32_b64 s15, s[26:27]
	v_mov_b32_e32 v2, s15
	s_waitcnt vmcnt(0)
	global_atomic_add_x2 v[9:10], v[2:3], off offset:8
.LBB7_631:                              ;   in Loop: Header=BB7_562 Depth=1
	s_or_b64 exec, exec, s[24:25]
	s_waitcnt vmcnt(0)
	global_load_dwordx2 v[13:14], v[9:10], off offset:16
	s_waitcnt vmcnt(0)
	v_cmp_eq_u64_e32 vcc, 0, v[13:14]
	s_cbranch_vccnz .LBB7_633
; %bb.632:                              ;   in Loop: Header=BB7_562 Depth=1
	global_load_dword v2, v[9:10], off offset:24
	s_waitcnt vmcnt(0)
	global_store_dwordx2 v[13:14], v[2:3], off
	v_and_b32_e32 v2, 0xffffff, v2
	v_readfirstlane_b32 m0, v2
	s_sendmsg sendmsg(MSG_INTERRUPT)
.LBB7_633:                              ;   in Loop: Header=BB7_562 Depth=1
	s_or_b64 exec, exec, s[22:23]
	v_add_co_u32_e32 v9, vcc, v31, v40
	v_addc_co_u32_e32 v10, vcc, 0, v32, vcc
	s_branch .LBB7_637
.LBB7_634:                              ;   in Loop: Header=BB7_637 Depth=2
	s_or_b64 exec, exec, s[22:23]
	v_readfirstlane_b32 s15, v2
	s_cmp_eq_u32 s15, 0
	s_cbranch_scc1 .LBB7_636
; %bb.635:                              ;   in Loop: Header=BB7_637 Depth=2
	s_sleep 1
	s_cbranch_execnz .LBB7_637
	s_branch .LBB7_639
.LBB7_636:                              ;   in Loop: Header=BB7_562 Depth=1
	s_branch .LBB7_639
.LBB7_637:                              ;   Parent Loop BB7_562 Depth=1
                                        ; =>  This Inner Loop Header: Depth=2
	v_mov_b32_e32 v2, 1
	s_and_saveexec_b64 s[22:23], s[4:5]
	s_cbranch_execz .LBB7_634
; %bb.638:                              ;   in Loop: Header=BB7_637 Depth=2
	global_load_dword v2, v[6:7], off offset:20 glc
	s_waitcnt vmcnt(0)
	buffer_wbinvl1_vol
	v_and_b32_e32 v2, 1, v2
	s_branch .LBB7_634
.LBB7_639:                              ;   in Loop: Header=BB7_562 Depth=1
	global_load_dwordx4 v[13:16], v[9:10], off
	s_and_saveexec_b64 s[22:23], s[4:5]
	s_cbranch_execz .LBB7_561
; %bb.640:                              ;   in Loop: Header=BB7_562 Depth=1
	global_load_dwordx2 v[6:7], v3, s[48:49] offset:40
	global_load_dwordx2 v[9:10], v3, s[48:49] offset:24 glc
	global_load_dwordx2 v[18:19], v3, s[48:49]
	v_mov_b32_e32 v2, s21
	s_waitcnt vmcnt(2)
	v_add_co_u32_e32 v17, vcc, 1, v6
	v_addc_co_u32_e32 v20, vcc, 0, v7, vcc
	v_add_co_u32_e32 v15, vcc, s20, v17
	v_addc_co_u32_e32 v16, vcc, v20, v2, vcc
	v_cmp_eq_u64_e32 vcc, 0, v[15:16]
	v_cndmask_b32_e32 v16, v16, v20, vcc
	v_cndmask_b32_e32 v15, v15, v17, vcc
	v_and_b32_e32 v2, v16, v7
	v_and_b32_e32 v6, v15, v6
	v_mul_lo_u32 v2, v2, 24
	v_mul_hi_u32 v7, v6, 24
	v_mul_lo_u32 v6, v6, 24
	s_waitcnt vmcnt(1)
	v_mov_b32_e32 v17, v9
	v_add_u32_e32 v2, v7, v2
	s_waitcnt vmcnt(0)
	v_add_co_u32_e32 v6, vcc, v18, v6
	v_addc_co_u32_e32 v7, vcc, v19, v2, vcc
	global_store_dwordx2 v[6:7], v[9:10], off
	v_mov_b32_e32 v18, v10
	s_waitcnt vmcnt(0)
	global_atomic_cmpswap_x2 v[17:18], v3, v[15:18], s[48:49] offset:24 glc
	s_waitcnt vmcnt(0)
	v_cmp_ne_u64_e32 vcc, v[17:18], v[9:10]
	s_and_b64 exec, exec, vcc
	s_cbranch_execz .LBB7_561
; %bb.641:                              ;   in Loop: Header=BB7_562 Depth=1
	s_mov_b64 s[4:5], 0
.LBB7_642:                              ;   Parent Loop BB7_562 Depth=1
                                        ; =>  This Inner Loop Header: Depth=2
	s_sleep 1
	global_store_dwordx2 v[6:7], v[17:18], off
	s_waitcnt vmcnt(0)
	global_atomic_cmpswap_x2 v[9:10], v3, v[15:18], s[48:49] offset:24 glc
	s_waitcnt vmcnt(0)
	v_cmp_eq_u64_e32 vcc, v[9:10], v[17:18]
	v_mov_b32_e32 v18, v10
	s_or_b64 s[4:5], vcc, s[4:5]
	v_mov_b32_e32 v17, v9
	s_andn2_b64 exec, exec, s[4:5]
	s_cbranch_execnz .LBB7_642
	s_branch .LBB7_561
.LBB7_643:
	s_branch .LBB7_671
.LBB7_644:
	s_cbranch_execz .LBB7_671
; %bb.645:
	v_readfirstlane_b32 s4, v44
	v_mov_b32_e32 v6, 0
	v_mov_b32_e32 v7, 0
	v_cmp_eq_u32_e64 s[4:5], s4, v44
	s_and_saveexec_b64 s[10:11], s[4:5]
	s_cbranch_execz .LBB7_651
; %bb.646:
	s_waitcnt vmcnt(0)
	v_mov_b32_e32 v2, 0
	global_load_dwordx2 v[11:12], v2, s[48:49] offset:24 glc
	s_waitcnt vmcnt(0)
	buffer_wbinvl1_vol
	global_load_dwordx2 v[6:7], v2, s[48:49] offset:40
	global_load_dwordx2 v[9:10], v2, s[48:49]
	s_waitcnt vmcnt(1)
	v_and_b32_e32 v3, v6, v11
	v_and_b32_e32 v6, v7, v12
	v_mul_lo_u32 v6, v6, 24
	v_mul_hi_u32 v7, v3, 24
	v_mul_lo_u32 v3, v3, 24
	v_add_u32_e32 v7, v7, v6
	s_waitcnt vmcnt(0)
	v_add_co_u32_e32 v6, vcc, v9, v3
	v_addc_co_u32_e32 v7, vcc, v10, v7, vcc
	global_load_dwordx2 v[9:10], v[6:7], off glc
	s_waitcnt vmcnt(0)
	global_atomic_cmpswap_x2 v[6:7], v2, v[9:12], s[48:49] offset:24 glc
	s_waitcnt vmcnt(0)
	buffer_wbinvl1_vol
	v_cmp_ne_u64_e32 vcc, v[6:7], v[11:12]
	s_and_saveexec_b64 s[16:17], vcc
	s_cbranch_execz .LBB7_650
; %bb.647:
	s_mov_b64 s[18:19], 0
.LBB7_648:                              ; =>This Inner Loop Header: Depth=1
	s_sleep 1
	global_load_dwordx2 v[9:10], v2, s[48:49] offset:40
	global_load_dwordx2 v[13:14], v2, s[48:49]
	v_mov_b32_e32 v12, v7
	v_mov_b32_e32 v11, v6
	s_waitcnt vmcnt(1)
	v_and_b32_e32 v3, v9, v11
	s_waitcnt vmcnt(0)
	v_mad_u64_u32 v[6:7], s[20:21], v3, 24, v[13:14]
	v_and_b32_e32 v9, v10, v12
	v_mov_b32_e32 v3, v7
	v_mad_u64_u32 v[9:10], s[20:21], v9, 24, v[3:4]
	v_mov_b32_e32 v7, v9
	global_load_dwordx2 v[9:10], v[6:7], off glc
	s_waitcnt vmcnt(0)
	global_atomic_cmpswap_x2 v[6:7], v2, v[9:12], s[48:49] offset:24 glc
	s_waitcnt vmcnt(0)
	buffer_wbinvl1_vol
	v_cmp_eq_u64_e32 vcc, v[6:7], v[11:12]
	s_or_b64 s[18:19], vcc, s[18:19]
	s_andn2_b64 exec, exec, s[18:19]
	s_cbranch_execnz .LBB7_648
; %bb.649:
	s_or_b64 exec, exec, s[18:19]
.LBB7_650:
	s_or_b64 exec, exec, s[16:17]
.LBB7_651:
	s_or_b64 exec, exec, s[10:11]
	s_waitcnt vmcnt(0)
	v_mov_b32_e32 v2, 0
	global_load_dwordx2 v[13:14], v2, s[48:49] offset:40
	global_load_dwordx4 v[9:12], v2, s[48:49]
	v_readfirstlane_b32 s10, v6
	v_readfirstlane_b32 s11, v7
	s_mov_b64 s[16:17], exec
	s_waitcnt vmcnt(1)
	v_readfirstlane_b32 s18, v13
	v_readfirstlane_b32 s19, v14
	s_and_b64 s[18:19], s[10:11], s[18:19]
	s_mul_i32 s15, s19, 24
	s_mul_hi_u32 s20, s18, 24
	s_mul_i32 s21, s18, 24
	s_add_i32 s15, s20, s15
	v_mov_b32_e32 v3, s15
	s_waitcnt vmcnt(0)
	v_add_co_u32_e32 v6, vcc, s21, v9
	v_addc_co_u32_e32 v7, vcc, v10, v3, vcc
	s_and_saveexec_b64 s[20:21], s[4:5]
	s_cbranch_execz .LBB7_653
; %bb.652:
	v_mov_b32_e32 v13, s16
	v_mov_b32_e32 v14, s17
	;; [unrolled: 1-line block ×4, first 2 shown]
	global_store_dwordx4 v[6:7], v[13:16], off offset:8
.LBB7_653:
	s_or_b64 exec, exec, s[20:21]
	s_lshl_b64 s[16:17], s[18:19], 12
	v_mov_b32_e32 v3, s17
	v_add_co_u32_e32 v11, vcc, s16, v11
	v_addc_co_u32_e32 v12, vcc, v12, v3, vcc
	s_movk_i32 s15, 0xff1d
	v_and_or_b32 v0, v0, s15, 34
	s_mov_b32 s16, 0
	v_mov_b32_e32 v3, v2
	v_readfirstlane_b32 s20, v11
	v_readfirstlane_b32 s21, v12
	s_mov_b32 s17, s16
	s_mov_b32 s18, s16
	;; [unrolled: 1-line block ×3, first 2 shown]
	s_nop 1
	global_store_dwordx4 v40, v[0:3], s[20:21]
	s_nop 0
	v_mov_b32_e32 v0, s16
	v_mov_b32_e32 v1, s17
	;; [unrolled: 1-line block ×4, first 2 shown]
	global_store_dwordx4 v40, v[0:3], s[20:21] offset:16
	global_store_dwordx4 v40, v[0:3], s[20:21] offset:32
	;; [unrolled: 1-line block ×3, first 2 shown]
	s_and_saveexec_b64 s[16:17], s[4:5]
	s_cbranch_execz .LBB7_661
; %bb.654:
	v_mov_b32_e32 v11, 0
	global_load_dwordx2 v[14:15], v11, s[48:49] offset:32 glc
	global_load_dwordx2 v[0:1], v11, s[48:49] offset:40
	v_mov_b32_e32 v12, s10
	v_mov_b32_e32 v13, s11
	s_waitcnt vmcnt(0)
	v_readfirstlane_b32 s18, v0
	v_readfirstlane_b32 s19, v1
	s_and_b64 s[18:19], s[18:19], s[10:11]
	s_mul_i32 s15, s19, 24
	s_mul_hi_u32 s19, s18, 24
	s_mul_i32 s18, s18, 24
	s_add_i32 s15, s19, s15
	v_mov_b32_e32 v0, s15
	v_add_co_u32_e32 v9, vcc, s18, v9
	v_addc_co_u32_e32 v10, vcc, v10, v0, vcc
	global_store_dwordx2 v[9:10], v[14:15], off
	s_waitcnt vmcnt(0)
	global_atomic_cmpswap_x2 v[2:3], v11, v[12:15], s[48:49] offset:32 glc
	s_waitcnt vmcnt(0)
	v_cmp_ne_u64_e32 vcc, v[2:3], v[14:15]
	s_and_saveexec_b64 s[18:19], vcc
	s_cbranch_execz .LBB7_657
; %bb.655:
	s_mov_b64 s[20:21], 0
.LBB7_656:                              ; =>This Inner Loop Header: Depth=1
	s_sleep 1
	global_store_dwordx2 v[9:10], v[2:3], off
	v_mov_b32_e32 v0, s10
	v_mov_b32_e32 v1, s11
	s_waitcnt vmcnt(0)
	global_atomic_cmpswap_x2 v[0:1], v11, v[0:3], s[48:49] offset:32 glc
	s_waitcnt vmcnt(0)
	v_cmp_eq_u64_e32 vcc, v[0:1], v[2:3]
	v_mov_b32_e32 v3, v1
	s_or_b64 s[20:21], vcc, s[20:21]
	v_mov_b32_e32 v2, v0
	s_andn2_b64 exec, exec, s[20:21]
	s_cbranch_execnz .LBB7_656
.LBB7_657:
	s_or_b64 exec, exec, s[18:19]
	v_mov_b32_e32 v3, 0
	global_load_dwordx2 v[0:1], v3, s[48:49] offset:16
	s_mov_b64 s[18:19], exec
	v_mbcnt_lo_u32_b32 v2, s18, 0
	v_mbcnt_hi_u32_b32 v2, s19, v2
	v_cmp_eq_u32_e32 vcc, 0, v2
	s_and_saveexec_b64 s[20:21], vcc
	s_cbranch_execz .LBB7_659
; %bb.658:
	s_bcnt1_i32_b64 s15, s[18:19]
	v_mov_b32_e32 v2, s15
	s_waitcnt vmcnt(0)
	global_atomic_add_x2 v[0:1], v[2:3], off offset:8
.LBB7_659:
	s_or_b64 exec, exec, s[20:21]
	s_waitcnt vmcnt(0)
	global_load_dwordx2 v[2:3], v[0:1], off offset:16
	s_waitcnt vmcnt(0)
	v_cmp_eq_u64_e32 vcc, 0, v[2:3]
	s_cbranch_vccnz .LBB7_661
; %bb.660:
	global_load_dword v0, v[0:1], off offset:24
	v_mov_b32_e32 v1, 0
	s_waitcnt vmcnt(0)
	global_store_dwordx2 v[2:3], v[0:1], off
	v_and_b32_e32 v0, 0xffffff, v0
	v_readfirstlane_b32 m0, v0
	s_sendmsg sendmsg(MSG_INTERRUPT)
.LBB7_661:
	s_or_b64 exec, exec, s[16:17]
	s_branch .LBB7_665
.LBB7_662:                              ;   in Loop: Header=BB7_665 Depth=1
	s_or_b64 exec, exec, s[16:17]
	v_readfirstlane_b32 s15, v0
	s_cmp_eq_u32 s15, 0
	s_cbranch_scc1 .LBB7_664
; %bb.663:                              ;   in Loop: Header=BB7_665 Depth=1
	s_sleep 1
	s_cbranch_execnz .LBB7_665
	s_branch .LBB7_667
.LBB7_664:
	s_branch .LBB7_667
.LBB7_665:                              ; =>This Inner Loop Header: Depth=1
	v_mov_b32_e32 v0, 1
	s_and_saveexec_b64 s[16:17], s[4:5]
	s_cbranch_execz .LBB7_662
; %bb.666:                              ;   in Loop: Header=BB7_665 Depth=1
	global_load_dword v0, v[6:7], off offset:20 glc
	s_waitcnt vmcnt(0)
	buffer_wbinvl1_vol
	v_and_b32_e32 v0, 1, v0
	s_branch .LBB7_662
.LBB7_667:
	s_and_saveexec_b64 s[16:17], s[4:5]
	s_cbranch_execz .LBB7_670
; %bb.668:
	v_mov_b32_e32 v9, 0
	global_load_dwordx2 v[2:3], v9, s[48:49] offset:40
	global_load_dwordx2 v[10:11], v9, s[48:49] offset:24 glc
	global_load_dwordx2 v[6:7], v9, s[48:49]
	v_mov_b32_e32 v1, s11
	s_mov_b64 s[4:5], 0
	s_waitcnt vmcnt(2)
	v_add_co_u32_e32 v12, vcc, 1, v2
	v_addc_co_u32_e32 v13, vcc, 0, v3, vcc
	v_add_co_u32_e32 v0, vcc, s10, v12
	v_addc_co_u32_e32 v1, vcc, v13, v1, vcc
	v_cmp_eq_u64_e32 vcc, 0, v[0:1]
	v_cndmask_b32_e32 v1, v1, v13, vcc
	v_cndmask_b32_e32 v0, v0, v12, vcc
	v_and_b32_e32 v3, v1, v3
	v_and_b32_e32 v2, v0, v2
	v_mul_lo_u32 v3, v3, 24
	v_mul_hi_u32 v12, v2, 24
	v_mul_lo_u32 v13, v2, 24
	s_waitcnt vmcnt(1)
	v_mov_b32_e32 v2, v10
	v_add_u32_e32 v3, v12, v3
	s_waitcnt vmcnt(0)
	v_add_co_u32_e32 v6, vcc, v6, v13
	v_addc_co_u32_e32 v7, vcc, v7, v3, vcc
	global_store_dwordx2 v[6:7], v[10:11], off
	v_mov_b32_e32 v3, v11
	s_waitcnt vmcnt(0)
	global_atomic_cmpswap_x2 v[2:3], v9, v[0:3], s[48:49] offset:24 glc
	s_waitcnt vmcnt(0)
	v_cmp_ne_u64_e32 vcc, v[2:3], v[10:11]
	s_and_b64 exec, exec, vcc
	s_cbranch_execz .LBB7_670
.LBB7_669:                              ; =>This Inner Loop Header: Depth=1
	s_sleep 1
	global_store_dwordx2 v[6:7], v[2:3], off
	s_waitcnt vmcnt(0)
	global_atomic_cmpswap_x2 v[10:11], v9, v[0:3], s[48:49] offset:24 glc
	s_waitcnt vmcnt(0)
	v_cmp_eq_u64_e32 vcc, v[10:11], v[2:3]
	v_mov_b32_e32 v2, v10
	s_or_b64 s[4:5], vcc, s[4:5]
	v_mov_b32_e32 v3, v11
	s_andn2_b64 exec, exec, s[4:5]
	s_cbranch_execnz .LBB7_669
.LBB7_670:
	s_or_b64 exec, exec, s[16:17]
.LBB7_671:
	v_readfirstlane_b32 s4, v44
	v_mov_b32_e32 v6, 0
	v_mov_b32_e32 v7, 0
	v_cmp_eq_u32_e64 s[4:5], s4, v44
	s_and_saveexec_b64 s[10:11], s[4:5]
	s_cbranch_execz .LBB7_677
; %bb.672:
	s_waitcnt vmcnt(0)
	v_mov_b32_e32 v0, 0
	global_load_dwordx2 v[11:12], v0, s[48:49] offset:24 glc
	s_waitcnt vmcnt(0)
	buffer_wbinvl1_vol
	global_load_dwordx2 v[1:2], v0, s[48:49] offset:40
	global_load_dwordx2 v[6:7], v0, s[48:49]
	s_waitcnt vmcnt(1)
	v_and_b32_e32 v1, v1, v11
	v_and_b32_e32 v2, v2, v12
	v_mul_lo_u32 v2, v2, 24
	v_mul_hi_u32 v3, v1, 24
	v_mul_lo_u32 v1, v1, 24
	v_add_u32_e32 v2, v3, v2
	s_waitcnt vmcnt(0)
	v_add_co_u32_e32 v1, vcc, v6, v1
	v_addc_co_u32_e32 v2, vcc, v7, v2, vcc
	global_load_dwordx2 v[9:10], v[1:2], off glc
	s_waitcnt vmcnt(0)
	global_atomic_cmpswap_x2 v[6:7], v0, v[9:12], s[48:49] offset:24 glc
	s_waitcnt vmcnt(0)
	buffer_wbinvl1_vol
	v_cmp_ne_u64_e32 vcc, v[6:7], v[11:12]
	s_and_saveexec_b64 s[16:17], vcc
	s_cbranch_execz .LBB7_676
; %bb.673:
	s_mov_b64 s[18:19], 0
.LBB7_674:                              ; =>This Inner Loop Header: Depth=1
	s_sleep 1
	global_load_dwordx2 v[1:2], v0, s[48:49] offset:40
	global_load_dwordx2 v[9:10], v0, s[48:49]
	v_mov_b32_e32 v12, v7
	v_mov_b32_e32 v11, v6
	s_waitcnt vmcnt(1)
	v_and_b32_e32 v1, v1, v11
	s_waitcnt vmcnt(0)
	v_mad_u64_u32 v[6:7], s[20:21], v1, 24, v[9:10]
	v_and_b32_e32 v2, v2, v12
	v_mov_b32_e32 v1, v7
	v_mad_u64_u32 v[1:2], s[20:21], v2, 24, v[1:2]
	v_mov_b32_e32 v7, v1
	global_load_dwordx2 v[9:10], v[6:7], off glc
	s_waitcnt vmcnt(0)
	global_atomic_cmpswap_x2 v[6:7], v0, v[9:12], s[48:49] offset:24 glc
	s_waitcnt vmcnt(0)
	buffer_wbinvl1_vol
	v_cmp_eq_u64_e32 vcc, v[6:7], v[11:12]
	s_or_b64 s[18:19], vcc, s[18:19]
	s_andn2_b64 exec, exec, s[18:19]
	s_cbranch_execnz .LBB7_674
; %bb.675:
	s_or_b64 exec, exec, s[18:19]
.LBB7_676:
	s_or_b64 exec, exec, s[16:17]
.LBB7_677:
	s_or_b64 exec, exec, s[10:11]
	s_waitcnt vmcnt(0)
	v_mov_b32_e32 v10, 0
	global_load_dwordx2 v[11:12], v10, s[48:49] offset:40
	global_load_dwordx4 v[0:3], v10, s[48:49]
	v_readfirstlane_b32 s10, v6
	v_readfirstlane_b32 s11, v7
	s_mov_b64 s[16:17], exec
	s_waitcnt vmcnt(1)
	v_readfirstlane_b32 s18, v11
	v_readfirstlane_b32 s19, v12
	s_and_b64 s[18:19], s[10:11], s[18:19]
	s_mul_i32 s15, s19, 24
	s_mul_hi_u32 s20, s18, 24
	s_mul_i32 s21, s18, 24
	s_add_i32 s15, s20, s15
	v_mov_b32_e32 v7, s15
	s_waitcnt vmcnt(0)
	v_add_co_u32_e32 v6, vcc, s21, v0
	v_addc_co_u32_e32 v7, vcc, v1, v7, vcc
	s_and_saveexec_b64 s[20:21], s[4:5]
	s_cbranch_execz .LBB7_679
; %bb.678:
	v_mov_b32_e32 v11, s16
	v_mov_b32_e32 v12, s17
	;; [unrolled: 1-line block ×4, first 2 shown]
	global_store_dwordx4 v[6:7], v[11:14], off offset:8
.LBB7_679:
	s_or_b64 exec, exec, s[20:21]
	s_lshl_b64 s[16:17], s[18:19], 12
	v_mov_b32_e32 v9, s17
	v_add_co_u32_e32 v2, vcc, s16, v2
	v_addc_co_u32_e32 v3, vcc, v3, v9, vcc
	s_mov_b32 s16, 0
	v_mov_b32_e32 v9, 33
	v_mov_b32_e32 v11, v10
	;; [unrolled: 1-line block ×3, first 2 shown]
	v_readfirstlane_b32 s20, v2
	v_readfirstlane_b32 s21, v3
	v_add_co_u32_e32 v13, vcc, v2, v40
	s_mov_b32 s17, s16
	s_mov_b32 s18, s16
	;; [unrolled: 1-line block ×3, first 2 shown]
	s_nop 0
	global_store_dwordx4 v40, v[9:12], s[20:21]
	v_addc_co_u32_e32 v14, vcc, 0, v3, vcc
	v_mov_b32_e32 v9, s16
	v_mov_b32_e32 v10, s17
	v_mov_b32_e32 v11, s18
	v_mov_b32_e32 v12, s19
	global_store_dwordx4 v40, v[9:12], s[20:21] offset:16
	global_store_dwordx4 v40, v[9:12], s[20:21] offset:32
	;; [unrolled: 1-line block ×3, first 2 shown]
	s_and_saveexec_b64 s[16:17], s[4:5]
	s_cbranch_execz .LBB7_687
; %bb.680:
	v_mov_b32_e32 v11, 0
	global_load_dwordx2 v[17:18], v11, s[48:49] offset:32 glc
	global_load_dwordx2 v[2:3], v11, s[48:49] offset:40
	v_mov_b32_e32 v15, s10
	v_mov_b32_e32 v16, s11
	s_waitcnt vmcnt(0)
	v_readfirstlane_b32 s18, v2
	v_readfirstlane_b32 s19, v3
	s_and_b64 s[18:19], s[18:19], s[10:11]
	s_mul_i32 s15, s19, 24
	s_mul_hi_u32 s19, s18, 24
	s_mul_i32 s18, s18, 24
	s_add_i32 s15, s19, s15
	v_mov_b32_e32 v2, s15
	v_add_co_u32_e32 v9, vcc, s18, v0
	v_addc_co_u32_e32 v10, vcc, v1, v2, vcc
	global_store_dwordx2 v[9:10], v[17:18], off
	s_waitcnt vmcnt(0)
	global_atomic_cmpswap_x2 v[2:3], v11, v[15:18], s[48:49] offset:32 glc
	s_waitcnt vmcnt(0)
	v_cmp_ne_u64_e32 vcc, v[2:3], v[17:18]
	s_and_saveexec_b64 s[18:19], vcc
	s_cbranch_execz .LBB7_683
; %bb.681:
	s_mov_b64 s[20:21], 0
.LBB7_682:                              ; =>This Inner Loop Header: Depth=1
	s_sleep 1
	global_store_dwordx2 v[9:10], v[2:3], off
	v_mov_b32_e32 v0, s10
	v_mov_b32_e32 v1, s11
	s_waitcnt vmcnt(0)
	global_atomic_cmpswap_x2 v[0:1], v11, v[0:3], s[48:49] offset:32 glc
	s_waitcnt vmcnt(0)
	v_cmp_eq_u64_e32 vcc, v[0:1], v[2:3]
	v_mov_b32_e32 v3, v1
	s_or_b64 s[20:21], vcc, s[20:21]
	v_mov_b32_e32 v2, v0
	s_andn2_b64 exec, exec, s[20:21]
	s_cbranch_execnz .LBB7_682
.LBB7_683:
	s_or_b64 exec, exec, s[18:19]
	v_mov_b32_e32 v3, 0
	global_load_dwordx2 v[0:1], v3, s[48:49] offset:16
	s_mov_b64 s[18:19], exec
	v_mbcnt_lo_u32_b32 v2, s18, 0
	v_mbcnt_hi_u32_b32 v2, s19, v2
	v_cmp_eq_u32_e32 vcc, 0, v2
	s_and_saveexec_b64 s[20:21], vcc
	s_cbranch_execz .LBB7_685
; %bb.684:
	s_bcnt1_i32_b64 s15, s[18:19]
	v_mov_b32_e32 v2, s15
	s_waitcnt vmcnt(0)
	global_atomic_add_x2 v[0:1], v[2:3], off offset:8
.LBB7_685:
	s_or_b64 exec, exec, s[20:21]
	s_waitcnt vmcnt(0)
	global_load_dwordx2 v[2:3], v[0:1], off offset:16
	s_waitcnt vmcnt(0)
	v_cmp_eq_u64_e32 vcc, 0, v[2:3]
	s_cbranch_vccnz .LBB7_687
; %bb.686:
	global_load_dword v0, v[0:1], off offset:24
	v_mov_b32_e32 v1, 0
	s_waitcnt vmcnt(0)
	global_store_dwordx2 v[2:3], v[0:1], off
	v_and_b32_e32 v0, 0xffffff, v0
	v_readfirstlane_b32 m0, v0
	s_sendmsg sendmsg(MSG_INTERRUPT)
.LBB7_687:
	s_or_b64 exec, exec, s[16:17]
	s_branch .LBB7_691
.LBB7_688:                              ;   in Loop: Header=BB7_691 Depth=1
	s_or_b64 exec, exec, s[16:17]
	v_readfirstlane_b32 s15, v0
	s_cmp_eq_u32 s15, 0
	s_cbranch_scc1 .LBB7_690
; %bb.689:                              ;   in Loop: Header=BB7_691 Depth=1
	s_sleep 1
	s_cbranch_execnz .LBB7_691
	s_branch .LBB7_693
.LBB7_690:
	s_branch .LBB7_693
.LBB7_691:                              ; =>This Inner Loop Header: Depth=1
	v_mov_b32_e32 v0, 1
	s_and_saveexec_b64 s[16:17], s[4:5]
	s_cbranch_execz .LBB7_688
; %bb.692:                              ;   in Loop: Header=BB7_691 Depth=1
	global_load_dword v0, v[6:7], off offset:20 glc
	s_waitcnt vmcnt(0)
	buffer_wbinvl1_vol
	v_and_b32_e32 v0, 1, v0
	s_branch .LBB7_688
.LBB7_693:
	global_load_dwordx2 v[0:1], v[13:14], off
	s_and_saveexec_b64 s[16:17], s[4:5]
	s_cbranch_execz .LBB7_696
; %bb.694:
	v_mov_b32_e32 v6, 0
	global_load_dwordx2 v[2:3], v6, s[48:49] offset:40
	global_load_dwordx2 v[13:14], v6, s[48:49] offset:24 glc
	global_load_dwordx2 v[15:16], v6, s[48:49]
	v_mov_b32_e32 v7, s11
	s_mov_b64 s[4:5], 0
	s_waitcnt vmcnt(2)
	v_add_co_u32_e32 v11, vcc, 1, v2
	v_addc_co_u32_e32 v12, vcc, 0, v3, vcc
	v_add_co_u32_e32 v9, vcc, s10, v11
	v_addc_co_u32_e32 v10, vcc, v12, v7, vcc
	v_cmp_eq_u64_e32 vcc, 0, v[9:10]
	v_cndmask_b32_e32 v10, v10, v12, vcc
	v_cndmask_b32_e32 v9, v9, v11, vcc
	v_and_b32_e32 v3, v10, v3
	v_and_b32_e32 v2, v9, v2
	v_mul_lo_u32 v3, v3, 24
	v_mul_hi_u32 v7, v2, 24
	v_mul_lo_u32 v2, v2, 24
	s_waitcnt vmcnt(1)
	v_mov_b32_e32 v11, v13
	v_mov_b32_e32 v12, v14
	v_add_u32_e32 v3, v7, v3
	s_waitcnt vmcnt(0)
	v_add_co_u32_e32 v2, vcc, v15, v2
	v_addc_co_u32_e32 v3, vcc, v16, v3, vcc
	global_store_dwordx2 v[2:3], v[13:14], off
	s_waitcnt vmcnt(0)
	global_atomic_cmpswap_x2 v[11:12], v6, v[9:12], s[48:49] offset:24 glc
	s_waitcnt vmcnt(0)
	v_cmp_ne_u64_e32 vcc, v[11:12], v[13:14]
	s_and_b64 exec, exec, vcc
	s_cbranch_execz .LBB7_696
.LBB7_695:                              ; =>This Inner Loop Header: Depth=1
	s_sleep 1
	global_store_dwordx2 v[2:3], v[11:12], off
	s_waitcnt vmcnt(0)
	global_atomic_cmpswap_x2 v[13:14], v6, v[9:12], s[48:49] offset:24 glc
	s_waitcnt vmcnt(0)
	v_cmp_eq_u64_e32 vcc, v[13:14], v[11:12]
	v_mov_b32_e32 v11, v13
	s_or_b64 s[4:5], vcc, s[4:5]
	v_mov_b32_e32 v12, v14
	s_andn2_b64 exec, exec, s[4:5]
	s_cbranch_execnz .LBB7_695
.LBB7_696:
	s_or_b64 exec, exec, s[16:17]
	s_and_b64 vcc, exec, s[50:51]
	s_cbranch_vccz .LBB7_781
; %bb.697:
	s_waitcnt vmcnt(0)
	v_and_b32_e32 v35, 2, v0
	v_mov_b32_e32 v3, 0
	v_and_b32_e32 v9, -3, v0
	v_mov_b32_e32 v10, v1
	s_mov_b64 s[16:17], 3
	v_mov_b32_e32 v13, 2
	v_mov_b32_e32 v14, 1
	s_getpc_b64 s[10:11]
	s_add_u32 s10, s10, .str.6@rel32@lo+4
	s_addc_u32 s11, s11, .str.6@rel32@hi+12
	s_branch .LBB7_699
.LBB7_698:                              ;   in Loop: Header=BB7_699 Depth=1
	s_or_b64 exec, exec, s[22:23]
	s_sub_u32 s16, s16, s18
	s_subb_u32 s17, s17, s19
	s_add_u32 s10, s10, s18
	s_addc_u32 s11, s11, s19
	s_cmp_lg_u64 s[16:17], 0
	s_cbranch_scc0 .LBB7_780
.LBB7_699:                              ; =>This Loop Header: Depth=1
                                        ;     Child Loop BB7_702 Depth 2
                                        ;     Child Loop BB7_709 Depth 2
	;; [unrolled: 1-line block ×11, first 2 shown]
	v_cmp_lt_u64_e64 s[4:5], s[16:17], 56
	v_cmp_gt_u64_e64 s[20:21], s[16:17], 7
	s_and_b64 s[4:5], s[4:5], exec
	s_cselect_b32 s19, s17, 0
	s_cselect_b32 s18, s16, 56
	s_and_b64 vcc, exec, s[20:21]
	s_cbranch_vccnz .LBB7_704
; %bb.700:                              ;   in Loop: Header=BB7_699 Depth=1
	v_mov_b32_e32 v17, 0
	s_cmp_eq_u64 s[16:17], 0
	v_mov_b32_e32 v18, 0
	s_mov_b64 s[4:5], 0
	s_cbranch_scc1 .LBB7_703
; %bb.701:                              ;   in Loop: Header=BB7_699 Depth=1
	v_mov_b32_e32 v17, 0
	s_lshl_b64 s[20:21], s[18:19], 3
	s_mov_b64 s[22:23], 0
	v_mov_b32_e32 v18, 0
	s_mov_b64 s[24:25], s[10:11]
.LBB7_702:                              ;   Parent Loop BB7_699 Depth=1
                                        ; =>  This Inner Loop Header: Depth=2
	global_load_ubyte v2, v3, s[24:25]
	s_waitcnt vmcnt(0)
	v_and_b32_e32 v2, 0xffff, v2
	v_lshlrev_b64 v[6:7], s22, v[2:3]
	s_add_u32 s22, s22, 8
	s_addc_u32 s23, s23, 0
	s_add_u32 s24, s24, 1
	s_addc_u32 s25, s25, 0
	v_or_b32_e32 v17, v6, v17
	s_cmp_lg_u32 s20, s22
	v_or_b32_e32 v18, v7, v18
	s_cbranch_scc1 .LBB7_702
.LBB7_703:                              ;   in Loop: Header=BB7_699 Depth=1
	s_mov_b32 s15, 0
	s_andn2_b64 vcc, exec, s[4:5]
	s_mov_b64 s[4:5], s[10:11]
	s_cbranch_vccz .LBB7_705
	s_branch .LBB7_706
.LBB7_704:                              ;   in Loop: Header=BB7_699 Depth=1
                                        ; implicit-def: $vgpr17_vgpr18
                                        ; implicit-def: $sgpr15
	s_mov_b64 s[4:5], s[10:11]
.LBB7_705:                              ;   in Loop: Header=BB7_699 Depth=1
	global_load_dwordx2 v[17:18], v3, s[10:11]
	s_add_i32 s15, s18, -8
	s_add_u32 s4, s10, 8
	s_addc_u32 s5, s11, 0
.LBB7_706:                              ;   in Loop: Header=BB7_699 Depth=1
	s_cmp_gt_u32 s15, 7
	s_cbranch_scc1 .LBB7_710
; %bb.707:                              ;   in Loop: Header=BB7_699 Depth=1
	s_cmp_eq_u32 s15, 0
	s_cbranch_scc1 .LBB7_711
; %bb.708:                              ;   in Loop: Header=BB7_699 Depth=1
	v_mov_b32_e32 v19, 0
	s_mov_b64 s[20:21], 0
	v_mov_b32_e32 v20, 0
	s_mov_b64 s[22:23], 0
.LBB7_709:                              ;   Parent Loop BB7_699 Depth=1
                                        ; =>  This Inner Loop Header: Depth=2
	s_add_u32 s24, s4, s22
	s_addc_u32 s25, s5, s23
	global_load_ubyte v2, v3, s[24:25]
	s_add_u32 s22, s22, 1
	s_addc_u32 s23, s23, 0
	s_waitcnt vmcnt(0)
	v_and_b32_e32 v2, 0xffff, v2
	v_lshlrev_b64 v[6:7], s20, v[2:3]
	s_add_u32 s20, s20, 8
	s_addc_u32 s21, s21, 0
	v_or_b32_e32 v19, v6, v19
	s_cmp_lg_u32 s15, s22
	v_or_b32_e32 v20, v7, v20
	s_cbranch_scc1 .LBB7_709
	s_branch .LBB7_712
.LBB7_710:                              ;   in Loop: Header=BB7_699 Depth=1
                                        ; implicit-def: $vgpr19_vgpr20
                                        ; implicit-def: $sgpr24
	s_branch .LBB7_713
.LBB7_711:                              ;   in Loop: Header=BB7_699 Depth=1
	v_mov_b32_e32 v19, 0
	v_mov_b32_e32 v20, 0
.LBB7_712:                              ;   in Loop: Header=BB7_699 Depth=1
	s_mov_b32 s24, 0
	s_cbranch_execnz .LBB7_714
.LBB7_713:                              ;   in Loop: Header=BB7_699 Depth=1
	global_load_dwordx2 v[19:20], v3, s[4:5]
	s_add_i32 s24, s15, -8
	s_add_u32 s4, s4, 8
	s_addc_u32 s5, s5, 0
.LBB7_714:                              ;   in Loop: Header=BB7_699 Depth=1
	s_cmp_gt_u32 s24, 7
	s_cbranch_scc1 .LBB7_718
; %bb.715:                              ;   in Loop: Header=BB7_699 Depth=1
	s_cmp_eq_u32 s24, 0
	s_cbranch_scc1 .LBB7_719
; %bb.716:                              ;   in Loop: Header=BB7_699 Depth=1
	v_mov_b32_e32 v21, 0
	s_mov_b64 s[20:21], 0
	v_mov_b32_e32 v22, 0
	s_mov_b64 s[22:23], 0
.LBB7_717:                              ;   Parent Loop BB7_699 Depth=1
                                        ; =>  This Inner Loop Header: Depth=2
	s_add_u32 s26, s4, s22
	s_addc_u32 s27, s5, s23
	global_load_ubyte v2, v3, s[26:27]
	s_add_u32 s22, s22, 1
	s_addc_u32 s23, s23, 0
	s_waitcnt vmcnt(0)
	v_and_b32_e32 v2, 0xffff, v2
	v_lshlrev_b64 v[6:7], s20, v[2:3]
	s_add_u32 s20, s20, 8
	s_addc_u32 s21, s21, 0
	v_or_b32_e32 v21, v6, v21
	s_cmp_lg_u32 s24, s22
	v_or_b32_e32 v22, v7, v22
	s_cbranch_scc1 .LBB7_717
	s_branch .LBB7_720
.LBB7_718:                              ;   in Loop: Header=BB7_699 Depth=1
                                        ; implicit-def: $sgpr15
	s_branch .LBB7_721
.LBB7_719:                              ;   in Loop: Header=BB7_699 Depth=1
	v_mov_b32_e32 v21, 0
	v_mov_b32_e32 v22, 0
.LBB7_720:                              ;   in Loop: Header=BB7_699 Depth=1
	s_mov_b32 s15, 0
	s_cbranch_execnz .LBB7_722
.LBB7_721:                              ;   in Loop: Header=BB7_699 Depth=1
	global_load_dwordx2 v[21:22], v3, s[4:5]
	s_add_i32 s15, s24, -8
	s_add_u32 s4, s4, 8
	s_addc_u32 s5, s5, 0
.LBB7_722:                              ;   in Loop: Header=BB7_699 Depth=1
	s_cmp_gt_u32 s15, 7
	s_cbranch_scc1 .LBB7_726
; %bb.723:                              ;   in Loop: Header=BB7_699 Depth=1
	s_cmp_eq_u32 s15, 0
	s_cbranch_scc1 .LBB7_727
; %bb.724:                              ;   in Loop: Header=BB7_699 Depth=1
	v_mov_b32_e32 v23, 0
	s_mov_b64 s[20:21], 0
	v_mov_b32_e32 v24, 0
	s_mov_b64 s[22:23], 0
.LBB7_725:                              ;   Parent Loop BB7_699 Depth=1
                                        ; =>  This Inner Loop Header: Depth=2
	s_add_u32 s24, s4, s22
	s_addc_u32 s25, s5, s23
	global_load_ubyte v2, v3, s[24:25]
	s_add_u32 s22, s22, 1
	s_addc_u32 s23, s23, 0
	s_waitcnt vmcnt(0)
	v_and_b32_e32 v2, 0xffff, v2
	v_lshlrev_b64 v[6:7], s20, v[2:3]
	s_add_u32 s20, s20, 8
	s_addc_u32 s21, s21, 0
	v_or_b32_e32 v23, v6, v23
	s_cmp_lg_u32 s15, s22
	v_or_b32_e32 v24, v7, v24
	s_cbranch_scc1 .LBB7_725
	s_branch .LBB7_728
.LBB7_726:                              ;   in Loop: Header=BB7_699 Depth=1
                                        ; implicit-def: $vgpr23_vgpr24
                                        ; implicit-def: $sgpr24
	s_branch .LBB7_729
.LBB7_727:                              ;   in Loop: Header=BB7_699 Depth=1
	v_mov_b32_e32 v23, 0
	v_mov_b32_e32 v24, 0
.LBB7_728:                              ;   in Loop: Header=BB7_699 Depth=1
	s_mov_b32 s24, 0
	s_cbranch_execnz .LBB7_730
.LBB7_729:                              ;   in Loop: Header=BB7_699 Depth=1
	global_load_dwordx2 v[23:24], v3, s[4:5]
	s_add_i32 s24, s15, -8
	s_add_u32 s4, s4, 8
	s_addc_u32 s5, s5, 0
.LBB7_730:                              ;   in Loop: Header=BB7_699 Depth=1
	s_cmp_gt_u32 s24, 7
	s_cbranch_scc1 .LBB7_734
; %bb.731:                              ;   in Loop: Header=BB7_699 Depth=1
	s_cmp_eq_u32 s24, 0
	s_cbranch_scc1 .LBB7_735
; %bb.732:                              ;   in Loop: Header=BB7_699 Depth=1
	v_mov_b32_e32 v25, 0
	s_mov_b64 s[20:21], 0
	v_mov_b32_e32 v26, 0
	s_mov_b64 s[22:23], 0
.LBB7_733:                              ;   Parent Loop BB7_699 Depth=1
                                        ; =>  This Inner Loop Header: Depth=2
	s_add_u32 s26, s4, s22
	s_addc_u32 s27, s5, s23
	global_load_ubyte v2, v3, s[26:27]
	s_add_u32 s22, s22, 1
	s_addc_u32 s23, s23, 0
	s_waitcnt vmcnt(0)
	v_and_b32_e32 v2, 0xffff, v2
	v_lshlrev_b64 v[6:7], s20, v[2:3]
	s_add_u32 s20, s20, 8
	s_addc_u32 s21, s21, 0
	v_or_b32_e32 v25, v6, v25
	s_cmp_lg_u32 s24, s22
	v_or_b32_e32 v26, v7, v26
	s_cbranch_scc1 .LBB7_733
	s_branch .LBB7_736
.LBB7_734:                              ;   in Loop: Header=BB7_699 Depth=1
                                        ; implicit-def: $sgpr15
	s_branch .LBB7_737
.LBB7_735:                              ;   in Loop: Header=BB7_699 Depth=1
	v_mov_b32_e32 v25, 0
	v_mov_b32_e32 v26, 0
.LBB7_736:                              ;   in Loop: Header=BB7_699 Depth=1
	s_mov_b32 s15, 0
	s_cbranch_execnz .LBB7_738
.LBB7_737:                              ;   in Loop: Header=BB7_699 Depth=1
	global_load_dwordx2 v[25:26], v3, s[4:5]
	s_add_i32 s15, s24, -8
	s_add_u32 s4, s4, 8
	s_addc_u32 s5, s5, 0
.LBB7_738:                              ;   in Loop: Header=BB7_699 Depth=1
	s_cmp_gt_u32 s15, 7
	s_cbranch_scc1 .LBB7_742
; %bb.739:                              ;   in Loop: Header=BB7_699 Depth=1
	s_cmp_eq_u32 s15, 0
	s_cbranch_scc1 .LBB7_743
; %bb.740:                              ;   in Loop: Header=BB7_699 Depth=1
	v_mov_b32_e32 v27, 0
	s_mov_b64 s[20:21], 0
	v_mov_b32_e32 v28, 0
	s_mov_b64 s[22:23], 0
.LBB7_741:                              ;   Parent Loop BB7_699 Depth=1
                                        ; =>  This Inner Loop Header: Depth=2
	s_add_u32 s24, s4, s22
	s_addc_u32 s25, s5, s23
	global_load_ubyte v2, v3, s[24:25]
	s_add_u32 s22, s22, 1
	s_addc_u32 s23, s23, 0
	s_waitcnt vmcnt(0)
	v_and_b32_e32 v2, 0xffff, v2
	v_lshlrev_b64 v[6:7], s20, v[2:3]
	s_add_u32 s20, s20, 8
	s_addc_u32 s21, s21, 0
	v_or_b32_e32 v27, v6, v27
	s_cmp_lg_u32 s15, s22
	v_or_b32_e32 v28, v7, v28
	s_cbranch_scc1 .LBB7_741
	s_branch .LBB7_744
.LBB7_742:                              ;   in Loop: Header=BB7_699 Depth=1
                                        ; implicit-def: $vgpr27_vgpr28
                                        ; implicit-def: $sgpr24
	s_branch .LBB7_745
.LBB7_743:                              ;   in Loop: Header=BB7_699 Depth=1
	v_mov_b32_e32 v27, 0
	v_mov_b32_e32 v28, 0
.LBB7_744:                              ;   in Loop: Header=BB7_699 Depth=1
	s_mov_b32 s24, 0
	s_cbranch_execnz .LBB7_746
.LBB7_745:                              ;   in Loop: Header=BB7_699 Depth=1
	global_load_dwordx2 v[27:28], v3, s[4:5]
	s_add_i32 s24, s15, -8
	s_add_u32 s4, s4, 8
	s_addc_u32 s5, s5, 0
.LBB7_746:                              ;   in Loop: Header=BB7_699 Depth=1
	s_cmp_gt_u32 s24, 7
	s_cbranch_scc1 .LBB7_750
; %bb.747:                              ;   in Loop: Header=BB7_699 Depth=1
	s_cmp_eq_u32 s24, 0
	s_cbranch_scc1 .LBB7_751
; %bb.748:                              ;   in Loop: Header=BB7_699 Depth=1
	v_mov_b32_e32 v29, 0
	s_mov_b64 s[20:21], 0
	v_mov_b32_e32 v30, 0
	s_mov_b64 s[22:23], s[4:5]
.LBB7_749:                              ;   Parent Loop BB7_699 Depth=1
                                        ; =>  This Inner Loop Header: Depth=2
	global_load_ubyte v2, v3, s[22:23]
	s_add_i32 s24, s24, -1
	s_waitcnt vmcnt(0)
	v_and_b32_e32 v2, 0xffff, v2
	v_lshlrev_b64 v[6:7], s20, v[2:3]
	s_add_u32 s20, s20, 8
	s_addc_u32 s21, s21, 0
	s_add_u32 s22, s22, 1
	s_addc_u32 s23, s23, 0
	v_or_b32_e32 v29, v6, v29
	s_cmp_lg_u32 s24, 0
	v_or_b32_e32 v30, v7, v30
	s_cbranch_scc1 .LBB7_749
	s_branch .LBB7_752
.LBB7_750:                              ;   in Loop: Header=BB7_699 Depth=1
	s_branch .LBB7_753
.LBB7_751:                              ;   in Loop: Header=BB7_699 Depth=1
	v_mov_b32_e32 v29, 0
	v_mov_b32_e32 v30, 0
.LBB7_752:                              ;   in Loop: Header=BB7_699 Depth=1
	s_cbranch_execnz .LBB7_754
.LBB7_753:                              ;   in Loop: Header=BB7_699 Depth=1
	global_load_dwordx2 v[29:30], v3, s[4:5]
.LBB7_754:                              ;   in Loop: Header=BB7_699 Depth=1
	v_readfirstlane_b32 s4, v44
	v_mov_b32_e32 v6, 0
	v_mov_b32_e32 v7, 0
	v_cmp_eq_u32_e64 s[4:5], s4, v44
	s_and_saveexec_b64 s[20:21], s[4:5]
	s_cbranch_execz .LBB7_760
; %bb.755:                              ;   in Loop: Header=BB7_699 Depth=1
	global_load_dwordx2 v[33:34], v3, s[48:49] offset:24 glc
	s_waitcnt vmcnt(0)
	buffer_wbinvl1_vol
	global_load_dwordx2 v[6:7], v3, s[48:49] offset:40
	global_load_dwordx2 v[11:12], v3, s[48:49]
	s_waitcnt vmcnt(1)
	v_and_b32_e32 v2, v6, v33
	v_and_b32_e32 v6, v7, v34
	v_mul_lo_u32 v6, v6, 24
	v_mul_hi_u32 v7, v2, 24
	v_mul_lo_u32 v2, v2, 24
	v_add_u32_e32 v7, v7, v6
	s_waitcnt vmcnt(0)
	v_add_co_u32_e32 v6, vcc, v11, v2
	v_addc_co_u32_e32 v7, vcc, v12, v7, vcc
	global_load_dwordx2 v[31:32], v[6:7], off glc
	s_waitcnt vmcnt(0)
	global_atomic_cmpswap_x2 v[6:7], v3, v[31:34], s[48:49] offset:24 glc
	s_waitcnt vmcnt(0)
	buffer_wbinvl1_vol
	v_cmp_ne_u64_e32 vcc, v[6:7], v[33:34]
	s_and_saveexec_b64 s[22:23], vcc
	s_cbranch_execz .LBB7_759
; %bb.756:                              ;   in Loop: Header=BB7_699 Depth=1
	s_mov_b64 s[24:25], 0
.LBB7_757:                              ;   Parent Loop BB7_699 Depth=1
                                        ; =>  This Inner Loop Header: Depth=2
	s_sleep 1
	global_load_dwordx2 v[11:12], v3, s[48:49] offset:40
	global_load_dwordx2 v[15:16], v3, s[48:49]
	v_mov_b32_e32 v34, v7
	v_mov_b32_e32 v33, v6
	s_waitcnt vmcnt(1)
	v_and_b32_e32 v2, v11, v33
	s_waitcnt vmcnt(0)
	v_mad_u64_u32 v[6:7], s[26:27], v2, 24, v[15:16]
	v_and_b32_e32 v11, v12, v34
	v_mov_b32_e32 v2, v7
	v_mad_u64_u32 v[11:12], s[26:27], v11, 24, v[2:3]
	v_mov_b32_e32 v7, v11
	global_load_dwordx2 v[31:32], v[6:7], off glc
	s_waitcnt vmcnt(0)
	global_atomic_cmpswap_x2 v[6:7], v3, v[31:34], s[48:49] offset:24 glc
	s_waitcnt vmcnt(0)
	buffer_wbinvl1_vol
	v_cmp_eq_u64_e32 vcc, v[6:7], v[33:34]
	s_or_b64 s[24:25], vcc, s[24:25]
	s_andn2_b64 exec, exec, s[24:25]
	s_cbranch_execnz .LBB7_757
; %bb.758:                              ;   in Loop: Header=BB7_699 Depth=1
	s_or_b64 exec, exec, s[24:25]
.LBB7_759:                              ;   in Loop: Header=BB7_699 Depth=1
	s_or_b64 exec, exec, s[22:23]
.LBB7_760:                              ;   in Loop: Header=BB7_699 Depth=1
	s_or_b64 exec, exec, s[20:21]
	global_load_dwordx2 v[11:12], v3, s[48:49] offset:40
	global_load_dwordx4 v[31:34], v3, s[48:49]
	v_readfirstlane_b32 s20, v6
	v_readfirstlane_b32 s21, v7
	s_mov_b64 s[22:23], exec
	s_waitcnt vmcnt(1)
	v_readfirstlane_b32 s24, v11
	v_readfirstlane_b32 s25, v12
	s_and_b64 s[24:25], s[20:21], s[24:25]
	s_mul_i32 s15, s25, 24
	s_mul_hi_u32 s26, s24, 24
	s_mul_i32 s27, s24, 24
	s_add_i32 s15, s26, s15
	v_mov_b32_e32 v2, s15
	s_waitcnt vmcnt(0)
	v_add_co_u32_e32 v6, vcc, s27, v31
	v_addc_co_u32_e32 v7, vcc, v32, v2, vcc
	s_and_saveexec_b64 s[26:27], s[4:5]
	s_cbranch_execz .LBB7_762
; %bb.761:                              ;   in Loop: Header=BB7_699 Depth=1
	v_mov_b32_e32 v11, s22
	v_mov_b32_e32 v12, s23
	global_store_dwordx4 v[6:7], v[11:14], off offset:8
.LBB7_762:                              ;   in Loop: Header=BB7_699 Depth=1
	s_or_b64 exec, exec, s[26:27]
	s_lshl_b64 s[22:23], s[24:25], 12
	v_mov_b32_e32 v2, s23
	v_add_co_u32_e32 v33, vcc, s22, v33
	v_addc_co_u32_e32 v34, vcc, v34, v2, vcc
	v_cmp_gt_u64_e64 vcc, s[16:17], 56
	v_or_b32_e32 v2, 0, v10
	v_or_b32_e32 v11, v9, v35
	s_lshl_b32 s15, s18, 2
	v_cndmask_b32_e32 v16, v2, v10, vcc
	v_cndmask_b32_e32 v2, v11, v9, vcc
	s_add_i32 s15, s15, 28
	s_and_b32 s15, s15, 0x1e0
	v_and_b32_e32 v2, 0xffffff1f, v2
	v_or_b32_e32 v15, s15, v2
	v_readfirstlane_b32 s22, v33
	v_readfirstlane_b32 s23, v34
	s_nop 4
	global_store_dwordx4 v40, v[15:18], s[22:23]
	global_store_dwordx4 v40, v[19:22], s[22:23] offset:16
	global_store_dwordx4 v40, v[23:26], s[22:23] offset:32
	;; [unrolled: 1-line block ×3, first 2 shown]
	s_and_saveexec_b64 s[22:23], s[4:5]
	s_cbranch_execz .LBB7_770
; %bb.763:                              ;   in Loop: Header=BB7_699 Depth=1
	global_load_dwordx2 v[19:20], v3, s[48:49] offset:32 glc
	global_load_dwordx2 v[9:10], v3, s[48:49] offset:40
	v_mov_b32_e32 v17, s20
	v_mov_b32_e32 v18, s21
	s_waitcnt vmcnt(0)
	v_readfirstlane_b32 s24, v9
	v_readfirstlane_b32 s25, v10
	s_and_b64 s[24:25], s[24:25], s[20:21]
	s_mul_i32 s15, s25, 24
	s_mul_hi_u32 s25, s24, 24
	s_mul_i32 s24, s24, 24
	s_add_i32 s15, s25, s15
	v_mov_b32_e32 v2, s15
	v_add_co_u32_e32 v15, vcc, s24, v31
	v_addc_co_u32_e32 v16, vcc, v32, v2, vcc
	global_store_dwordx2 v[15:16], v[19:20], off
	s_waitcnt vmcnt(0)
	global_atomic_cmpswap_x2 v[11:12], v3, v[17:20], s[48:49] offset:32 glc
	s_waitcnt vmcnt(0)
	v_cmp_ne_u64_e32 vcc, v[11:12], v[19:20]
	s_and_saveexec_b64 s[24:25], vcc
	s_cbranch_execz .LBB7_766
; %bb.764:                              ;   in Loop: Header=BB7_699 Depth=1
	s_mov_b64 s[26:27], 0
.LBB7_765:                              ;   Parent Loop BB7_699 Depth=1
                                        ; =>  This Inner Loop Header: Depth=2
	s_sleep 1
	global_store_dwordx2 v[15:16], v[11:12], off
	v_mov_b32_e32 v9, s20
	v_mov_b32_e32 v10, s21
	s_waitcnt vmcnt(0)
	global_atomic_cmpswap_x2 v[9:10], v3, v[9:12], s[48:49] offset:32 glc
	s_waitcnt vmcnt(0)
	v_cmp_eq_u64_e32 vcc, v[9:10], v[11:12]
	v_mov_b32_e32 v12, v10
	s_or_b64 s[26:27], vcc, s[26:27]
	v_mov_b32_e32 v11, v9
	s_andn2_b64 exec, exec, s[26:27]
	s_cbranch_execnz .LBB7_765
.LBB7_766:                              ;   in Loop: Header=BB7_699 Depth=1
	s_or_b64 exec, exec, s[24:25]
	global_load_dwordx2 v[9:10], v3, s[48:49] offset:16
	s_mov_b64 s[26:27], exec
	v_mbcnt_lo_u32_b32 v2, s26, 0
	v_mbcnt_hi_u32_b32 v2, s27, v2
	v_cmp_eq_u32_e32 vcc, 0, v2
	s_and_saveexec_b64 s[24:25], vcc
	s_cbranch_execz .LBB7_768
; %bb.767:                              ;   in Loop: Header=BB7_699 Depth=1
	s_bcnt1_i32_b64 s15, s[26:27]
	v_mov_b32_e32 v2, s15
	s_waitcnt vmcnt(0)
	global_atomic_add_x2 v[9:10], v[2:3], off offset:8
.LBB7_768:                              ;   in Loop: Header=BB7_699 Depth=1
	s_or_b64 exec, exec, s[24:25]
	s_waitcnt vmcnt(0)
	global_load_dwordx2 v[11:12], v[9:10], off offset:16
	s_waitcnt vmcnt(0)
	v_cmp_eq_u64_e32 vcc, 0, v[11:12]
	s_cbranch_vccnz .LBB7_770
; %bb.769:                              ;   in Loop: Header=BB7_699 Depth=1
	global_load_dword v2, v[9:10], off offset:24
	s_waitcnt vmcnt(0)
	global_store_dwordx2 v[11:12], v[2:3], off
	v_and_b32_e32 v2, 0xffffff, v2
	v_readfirstlane_b32 m0, v2
	s_sendmsg sendmsg(MSG_INTERRUPT)
.LBB7_770:                              ;   in Loop: Header=BB7_699 Depth=1
	s_or_b64 exec, exec, s[22:23]
	v_add_co_u32_e32 v9, vcc, v33, v40
	v_addc_co_u32_e32 v10, vcc, 0, v34, vcc
	s_branch .LBB7_774
.LBB7_771:                              ;   in Loop: Header=BB7_774 Depth=2
	s_or_b64 exec, exec, s[22:23]
	v_readfirstlane_b32 s15, v2
	s_cmp_eq_u32 s15, 0
	s_cbranch_scc1 .LBB7_773
; %bb.772:                              ;   in Loop: Header=BB7_774 Depth=2
	s_sleep 1
	s_cbranch_execnz .LBB7_774
	s_branch .LBB7_776
.LBB7_773:                              ;   in Loop: Header=BB7_699 Depth=1
	s_branch .LBB7_776
.LBB7_774:                              ;   Parent Loop BB7_699 Depth=1
                                        ; =>  This Inner Loop Header: Depth=2
	v_mov_b32_e32 v2, 1
	s_and_saveexec_b64 s[22:23], s[4:5]
	s_cbranch_execz .LBB7_771
; %bb.775:                              ;   in Loop: Header=BB7_774 Depth=2
	global_load_dword v2, v[6:7], off offset:20 glc
	s_waitcnt vmcnt(0)
	buffer_wbinvl1_vol
	v_and_b32_e32 v2, 1, v2
	s_branch .LBB7_771
.LBB7_776:                              ;   in Loop: Header=BB7_699 Depth=1
	global_load_dwordx4 v[9:12], v[9:10], off
	s_and_saveexec_b64 s[22:23], s[4:5]
	s_cbranch_execz .LBB7_698
; %bb.777:                              ;   in Loop: Header=BB7_699 Depth=1
	global_load_dwordx2 v[6:7], v3, s[48:49] offset:40
	global_load_dwordx2 v[11:12], v3, s[48:49] offset:24 glc
	global_load_dwordx2 v[18:19], v3, s[48:49]
	v_mov_b32_e32 v2, s21
	s_waitcnt vmcnt(2)
	v_add_co_u32_e32 v17, vcc, 1, v6
	v_addc_co_u32_e32 v20, vcc, 0, v7, vcc
	v_add_co_u32_e32 v15, vcc, s20, v17
	v_addc_co_u32_e32 v16, vcc, v20, v2, vcc
	v_cmp_eq_u64_e32 vcc, 0, v[15:16]
	v_cndmask_b32_e32 v16, v16, v20, vcc
	v_cndmask_b32_e32 v15, v15, v17, vcc
	v_and_b32_e32 v2, v16, v7
	v_and_b32_e32 v6, v15, v6
	v_mul_lo_u32 v2, v2, 24
	v_mul_hi_u32 v7, v6, 24
	v_mul_lo_u32 v6, v6, 24
	s_waitcnt vmcnt(1)
	v_mov_b32_e32 v17, v11
	v_add_u32_e32 v2, v7, v2
	s_waitcnt vmcnt(0)
	v_add_co_u32_e32 v6, vcc, v18, v6
	v_addc_co_u32_e32 v7, vcc, v19, v2, vcc
	global_store_dwordx2 v[6:7], v[11:12], off
	v_mov_b32_e32 v18, v12
	s_waitcnt vmcnt(0)
	global_atomic_cmpswap_x2 v[17:18], v3, v[15:18], s[48:49] offset:24 glc
	s_waitcnt vmcnt(0)
	v_cmp_ne_u64_e32 vcc, v[17:18], v[11:12]
	s_and_b64 exec, exec, vcc
	s_cbranch_execz .LBB7_698
; %bb.778:                              ;   in Loop: Header=BB7_699 Depth=1
	s_mov_b64 s[4:5], 0
.LBB7_779:                              ;   Parent Loop BB7_699 Depth=1
                                        ; =>  This Inner Loop Header: Depth=2
	s_sleep 1
	global_store_dwordx2 v[6:7], v[17:18], off
	s_waitcnt vmcnt(0)
	global_atomic_cmpswap_x2 v[11:12], v3, v[15:18], s[48:49] offset:24 glc
	s_waitcnt vmcnt(0)
	v_cmp_eq_u64_e32 vcc, v[11:12], v[17:18]
	v_mov_b32_e32 v18, v12
	s_or_b64 s[4:5], vcc, s[4:5]
	v_mov_b32_e32 v17, v11
	s_andn2_b64 exec, exec, s[4:5]
	s_cbranch_execnz .LBB7_779
	s_branch .LBB7_698
.LBB7_780:
	s_branch .LBB7_808
.LBB7_781:
                                        ; implicit-def: $vgpr9_vgpr10
	s_cbranch_execz .LBB7_808
; %bb.782:
	v_readfirstlane_b32 s4, v44
	v_mov_b32_e32 v6, 0
	v_mov_b32_e32 v7, 0
	v_cmp_eq_u32_e64 s[4:5], s4, v44
	s_and_saveexec_b64 s[10:11], s[4:5]
	s_cbranch_execz .LBB7_788
; %bb.783:
	v_mov_b32_e32 v2, 0
	global_load_dwordx2 v[11:12], v2, s[48:49] offset:24 glc
	s_waitcnt vmcnt(0)
	buffer_wbinvl1_vol
	global_load_dwordx2 v[6:7], v2, s[48:49] offset:40
	global_load_dwordx2 v[9:10], v2, s[48:49]
	s_waitcnt vmcnt(1)
	v_and_b32_e32 v3, v6, v11
	v_and_b32_e32 v6, v7, v12
	v_mul_lo_u32 v6, v6, 24
	v_mul_hi_u32 v7, v3, 24
	v_mul_lo_u32 v3, v3, 24
	v_add_u32_e32 v7, v7, v6
	s_waitcnt vmcnt(0)
	v_add_co_u32_e32 v6, vcc, v9, v3
	v_addc_co_u32_e32 v7, vcc, v10, v7, vcc
	global_load_dwordx2 v[9:10], v[6:7], off glc
	s_waitcnt vmcnt(0)
	global_atomic_cmpswap_x2 v[6:7], v2, v[9:12], s[48:49] offset:24 glc
	s_waitcnt vmcnt(0)
	buffer_wbinvl1_vol
	v_cmp_ne_u64_e32 vcc, v[6:7], v[11:12]
	s_and_saveexec_b64 s[16:17], vcc
	s_cbranch_execz .LBB7_787
; %bb.784:
	s_mov_b64 s[18:19], 0
.LBB7_785:                              ; =>This Inner Loop Header: Depth=1
	s_sleep 1
	global_load_dwordx2 v[9:10], v2, s[48:49] offset:40
	global_load_dwordx2 v[13:14], v2, s[48:49]
	v_mov_b32_e32 v12, v7
	v_mov_b32_e32 v11, v6
	s_waitcnt vmcnt(1)
	v_and_b32_e32 v3, v9, v11
	s_waitcnt vmcnt(0)
	v_mad_u64_u32 v[6:7], s[20:21], v3, 24, v[13:14]
	v_and_b32_e32 v9, v10, v12
	v_mov_b32_e32 v3, v7
	v_mad_u64_u32 v[9:10], s[20:21], v9, 24, v[3:4]
	v_mov_b32_e32 v7, v9
	global_load_dwordx2 v[9:10], v[6:7], off glc
	s_waitcnt vmcnt(0)
	global_atomic_cmpswap_x2 v[6:7], v2, v[9:12], s[48:49] offset:24 glc
	s_waitcnt vmcnt(0)
	buffer_wbinvl1_vol
	v_cmp_eq_u64_e32 vcc, v[6:7], v[11:12]
	s_or_b64 s[18:19], vcc, s[18:19]
	s_andn2_b64 exec, exec, s[18:19]
	s_cbranch_execnz .LBB7_785
; %bb.786:
	s_or_b64 exec, exec, s[18:19]
.LBB7_787:
	s_or_b64 exec, exec, s[16:17]
.LBB7_788:
	s_or_b64 exec, exec, s[10:11]
	v_mov_b32_e32 v2, 0
	global_load_dwordx2 v[13:14], v2, s[48:49] offset:40
	global_load_dwordx4 v[9:12], v2, s[48:49]
	v_readfirstlane_b32 s10, v6
	v_readfirstlane_b32 s11, v7
	s_mov_b64 s[16:17], exec
	s_waitcnt vmcnt(1)
	v_readfirstlane_b32 s18, v13
	v_readfirstlane_b32 s19, v14
	s_and_b64 s[18:19], s[10:11], s[18:19]
	s_mul_i32 s15, s19, 24
	s_mul_hi_u32 s20, s18, 24
	s_mul_i32 s21, s18, 24
	s_add_i32 s15, s20, s15
	v_mov_b32_e32 v3, s15
	s_waitcnt vmcnt(0)
	v_add_co_u32_e32 v6, vcc, s21, v9
	v_addc_co_u32_e32 v7, vcc, v10, v3, vcc
	s_and_saveexec_b64 s[20:21], s[4:5]
	s_cbranch_execz .LBB7_790
; %bb.789:
	v_mov_b32_e32 v13, s16
	v_mov_b32_e32 v14, s17
	v_mov_b32_e32 v15, 2
	v_mov_b32_e32 v16, 1
	global_store_dwordx4 v[6:7], v[13:16], off offset:8
.LBB7_790:
	s_or_b64 exec, exec, s[20:21]
	s_lshl_b64 s[16:17], s[18:19], 12
	v_mov_b32_e32 v3, s17
	v_add_co_u32_e32 v13, vcc, s16, v11
	v_addc_co_u32_e32 v14, vcc, v12, v3, vcc
	s_movk_i32 s15, 0xff1f
	v_and_or_b32 v0, v0, s15, 32
	s_mov_b32 s16, 0
	v_mov_b32_e32 v3, v2
	v_readfirstlane_b32 s20, v13
	v_readfirstlane_b32 s21, v14
	v_add_co_u32_e32 v11, vcc, v13, v40
	s_mov_b32 s17, s16
	s_mov_b32 s18, s16
	;; [unrolled: 1-line block ×3, first 2 shown]
	s_nop 0
	global_store_dwordx4 v40, v[0:3], s[20:21]
	v_addc_co_u32_e32 v12, vcc, 0, v14, vcc
	v_mov_b32_e32 v0, s16
	v_mov_b32_e32 v1, s17
	;; [unrolled: 1-line block ×4, first 2 shown]
	global_store_dwordx4 v40, v[0:3], s[20:21] offset:16
	global_store_dwordx4 v40, v[0:3], s[20:21] offset:32
	;; [unrolled: 1-line block ×3, first 2 shown]
	s_and_saveexec_b64 s[16:17], s[4:5]
	s_cbranch_execz .LBB7_798
; %bb.791:
	v_mov_b32_e32 v13, 0
	global_load_dwordx2 v[16:17], v13, s[48:49] offset:32 glc
	global_load_dwordx2 v[0:1], v13, s[48:49] offset:40
	v_mov_b32_e32 v14, s10
	v_mov_b32_e32 v15, s11
	s_waitcnt vmcnt(0)
	v_readfirstlane_b32 s18, v0
	v_readfirstlane_b32 s19, v1
	s_and_b64 s[18:19], s[18:19], s[10:11]
	s_mul_i32 s15, s19, 24
	s_mul_hi_u32 s19, s18, 24
	s_mul_i32 s18, s18, 24
	s_add_i32 s15, s19, s15
	v_mov_b32_e32 v0, s15
	v_add_co_u32_e32 v9, vcc, s18, v9
	v_addc_co_u32_e32 v10, vcc, v10, v0, vcc
	global_store_dwordx2 v[9:10], v[16:17], off
	s_waitcnt vmcnt(0)
	global_atomic_cmpswap_x2 v[2:3], v13, v[14:17], s[48:49] offset:32 glc
	s_waitcnt vmcnt(0)
	v_cmp_ne_u64_e32 vcc, v[2:3], v[16:17]
	s_and_saveexec_b64 s[18:19], vcc
	s_cbranch_execz .LBB7_794
; %bb.792:
	s_mov_b64 s[20:21], 0
.LBB7_793:                              ; =>This Inner Loop Header: Depth=1
	s_sleep 1
	global_store_dwordx2 v[9:10], v[2:3], off
	v_mov_b32_e32 v0, s10
	v_mov_b32_e32 v1, s11
	s_waitcnt vmcnt(0)
	global_atomic_cmpswap_x2 v[0:1], v13, v[0:3], s[48:49] offset:32 glc
	s_waitcnt vmcnt(0)
	v_cmp_eq_u64_e32 vcc, v[0:1], v[2:3]
	v_mov_b32_e32 v3, v1
	s_or_b64 s[20:21], vcc, s[20:21]
	v_mov_b32_e32 v2, v0
	s_andn2_b64 exec, exec, s[20:21]
	s_cbranch_execnz .LBB7_793
.LBB7_794:
	s_or_b64 exec, exec, s[18:19]
	v_mov_b32_e32 v3, 0
	global_load_dwordx2 v[0:1], v3, s[48:49] offset:16
	s_mov_b64 s[18:19], exec
	v_mbcnt_lo_u32_b32 v2, s18, 0
	v_mbcnt_hi_u32_b32 v2, s19, v2
	v_cmp_eq_u32_e32 vcc, 0, v2
	s_and_saveexec_b64 s[20:21], vcc
	s_cbranch_execz .LBB7_796
; %bb.795:
	s_bcnt1_i32_b64 s15, s[18:19]
	v_mov_b32_e32 v2, s15
	s_waitcnt vmcnt(0)
	global_atomic_add_x2 v[0:1], v[2:3], off offset:8
.LBB7_796:
	s_or_b64 exec, exec, s[20:21]
	s_waitcnt vmcnt(0)
	global_load_dwordx2 v[2:3], v[0:1], off offset:16
	s_waitcnt vmcnt(0)
	v_cmp_eq_u64_e32 vcc, 0, v[2:3]
	s_cbranch_vccnz .LBB7_798
; %bb.797:
	global_load_dword v0, v[0:1], off offset:24
	v_mov_b32_e32 v1, 0
	s_waitcnt vmcnt(0)
	global_store_dwordx2 v[2:3], v[0:1], off
	v_and_b32_e32 v0, 0xffffff, v0
	v_readfirstlane_b32 m0, v0
	s_sendmsg sendmsg(MSG_INTERRUPT)
.LBB7_798:
	s_or_b64 exec, exec, s[16:17]
	s_branch .LBB7_802
.LBB7_799:                              ;   in Loop: Header=BB7_802 Depth=1
	s_or_b64 exec, exec, s[16:17]
	v_readfirstlane_b32 s15, v0
	s_cmp_eq_u32 s15, 0
	s_cbranch_scc1 .LBB7_801
; %bb.800:                              ;   in Loop: Header=BB7_802 Depth=1
	s_sleep 1
	s_cbranch_execnz .LBB7_802
	s_branch .LBB7_804
.LBB7_801:
	s_branch .LBB7_804
.LBB7_802:                              ; =>This Inner Loop Header: Depth=1
	v_mov_b32_e32 v0, 1
	s_and_saveexec_b64 s[16:17], s[4:5]
	s_cbranch_execz .LBB7_799
; %bb.803:                              ;   in Loop: Header=BB7_802 Depth=1
	global_load_dword v0, v[6:7], off offset:20 glc
	s_waitcnt vmcnt(0)
	buffer_wbinvl1_vol
	v_and_b32_e32 v0, 1, v0
	s_branch .LBB7_799
.LBB7_804:
	global_load_dwordx2 v[9:10], v[11:12], off
	s_and_saveexec_b64 s[16:17], s[4:5]
	s_cbranch_execz .LBB7_807
; %bb.805:
	v_mov_b32_e32 v11, 0
	global_load_dwordx2 v[2:3], v11, s[48:49] offset:40
	global_load_dwordx2 v[12:13], v11, s[48:49] offset:24 glc
	global_load_dwordx2 v[6:7], v11, s[48:49]
	v_mov_b32_e32 v1, s11
	s_mov_b64 s[4:5], 0
	s_waitcnt vmcnt(2)
	v_add_co_u32_e32 v14, vcc, 1, v2
	v_addc_co_u32_e32 v15, vcc, 0, v3, vcc
	v_add_co_u32_e32 v0, vcc, s10, v14
	v_addc_co_u32_e32 v1, vcc, v15, v1, vcc
	v_cmp_eq_u64_e32 vcc, 0, v[0:1]
	v_cndmask_b32_e32 v1, v1, v15, vcc
	v_cndmask_b32_e32 v0, v0, v14, vcc
	v_and_b32_e32 v3, v1, v3
	v_and_b32_e32 v2, v0, v2
	v_mul_lo_u32 v3, v3, 24
	v_mul_hi_u32 v14, v2, 24
	v_mul_lo_u32 v15, v2, 24
	s_waitcnt vmcnt(1)
	v_mov_b32_e32 v2, v12
	v_add_u32_e32 v3, v14, v3
	s_waitcnt vmcnt(0)
	v_add_co_u32_e32 v6, vcc, v6, v15
	v_addc_co_u32_e32 v7, vcc, v7, v3, vcc
	global_store_dwordx2 v[6:7], v[12:13], off
	v_mov_b32_e32 v3, v13
	s_waitcnt vmcnt(0)
	global_atomic_cmpswap_x2 v[2:3], v11, v[0:3], s[48:49] offset:24 glc
	s_waitcnt vmcnt(0)
	v_cmp_ne_u64_e32 vcc, v[2:3], v[12:13]
	s_and_b64 exec, exec, vcc
	s_cbranch_execz .LBB7_807
.LBB7_806:                              ; =>This Inner Loop Header: Depth=1
	s_sleep 1
	global_store_dwordx2 v[6:7], v[2:3], off
	s_waitcnt vmcnt(0)
	global_atomic_cmpswap_x2 v[12:13], v11, v[0:3], s[48:49] offset:24 glc
	s_waitcnt vmcnt(0)
	v_cmp_eq_u64_e32 vcc, v[12:13], v[2:3]
	v_mov_b32_e32 v2, v12
	s_or_b64 s[4:5], vcc, s[4:5]
	v_mov_b32_e32 v3, v13
	s_andn2_b64 exec, exec, s[4:5]
	s_cbranch_execnz .LBB7_806
.LBB7_807:
	s_or_b64 exec, exec, s[16:17]
.LBB7_808:
	v_readfirstlane_b32 s4, v44
	v_mov_b32_e32 v6, 0
	v_mov_b32_e32 v7, 0
	v_cmp_eq_u32_e64 s[4:5], s4, v44
	s_and_saveexec_b64 s[10:11], s[4:5]
	s_cbranch_execz .LBB7_814
; %bb.809:
	s_waitcnt vmcnt(0)
	v_mov_b32_e32 v0, 0
	global_load_dwordx2 v[13:14], v0, s[48:49] offset:24 glc
	s_waitcnt vmcnt(0)
	buffer_wbinvl1_vol
	global_load_dwordx2 v[1:2], v0, s[48:49] offset:40
	global_load_dwordx2 v[6:7], v0, s[48:49]
	s_waitcnt vmcnt(1)
	v_and_b32_e32 v1, v1, v13
	v_and_b32_e32 v2, v2, v14
	v_mul_lo_u32 v2, v2, 24
	v_mul_hi_u32 v3, v1, 24
	v_mul_lo_u32 v1, v1, 24
	v_add_u32_e32 v2, v3, v2
	s_waitcnt vmcnt(0)
	v_add_co_u32_e32 v1, vcc, v6, v1
	v_addc_co_u32_e32 v2, vcc, v7, v2, vcc
	global_load_dwordx2 v[11:12], v[1:2], off glc
	s_waitcnt vmcnt(0)
	global_atomic_cmpswap_x2 v[6:7], v0, v[11:14], s[48:49] offset:24 glc
	s_waitcnt vmcnt(0)
	buffer_wbinvl1_vol
	v_cmp_ne_u64_e32 vcc, v[6:7], v[13:14]
	s_and_saveexec_b64 s[16:17], vcc
	s_cbranch_execz .LBB7_813
; %bb.810:
	s_mov_b64 s[18:19], 0
.LBB7_811:                              ; =>This Inner Loop Header: Depth=1
	s_sleep 1
	global_load_dwordx2 v[1:2], v0, s[48:49] offset:40
	global_load_dwordx2 v[11:12], v0, s[48:49]
	v_mov_b32_e32 v14, v7
	v_mov_b32_e32 v13, v6
	s_waitcnt vmcnt(1)
	v_and_b32_e32 v1, v1, v13
	s_waitcnt vmcnt(0)
	v_mad_u64_u32 v[6:7], s[20:21], v1, 24, v[11:12]
	v_and_b32_e32 v2, v2, v14
	v_mov_b32_e32 v1, v7
	v_mad_u64_u32 v[1:2], s[20:21], v2, 24, v[1:2]
	v_mov_b32_e32 v7, v1
	global_load_dwordx2 v[11:12], v[6:7], off glc
	s_waitcnt vmcnt(0)
	global_atomic_cmpswap_x2 v[6:7], v0, v[11:14], s[48:49] offset:24 glc
	s_waitcnt vmcnt(0)
	buffer_wbinvl1_vol
	v_cmp_eq_u64_e32 vcc, v[6:7], v[13:14]
	s_or_b64 s[18:19], vcc, s[18:19]
	s_andn2_b64 exec, exec, s[18:19]
	s_cbranch_execnz .LBB7_811
; %bb.812:
	s_or_b64 exec, exec, s[18:19]
.LBB7_813:
	s_or_b64 exec, exec, s[16:17]
.LBB7_814:
	s_or_b64 exec, exec, s[10:11]
	s_waitcnt vmcnt(0)
	v_mov_b32_e32 v12, 0
	global_load_dwordx2 v[13:14], v12, s[48:49] offset:40
	global_load_dwordx4 v[0:3], v12, s[48:49]
	v_readfirstlane_b32 s10, v6
	v_readfirstlane_b32 s11, v7
	s_mov_b64 s[16:17], exec
	s_waitcnt vmcnt(1)
	v_readfirstlane_b32 s18, v13
	v_readfirstlane_b32 s19, v14
	s_and_b64 s[18:19], s[10:11], s[18:19]
	s_mul_i32 s15, s19, 24
	s_mul_hi_u32 s20, s18, 24
	s_mul_i32 s21, s18, 24
	s_add_i32 s15, s20, s15
	v_mov_b32_e32 v7, s15
	s_waitcnt vmcnt(0)
	v_add_co_u32_e32 v6, vcc, s21, v0
	v_addc_co_u32_e32 v7, vcc, v1, v7, vcc
	s_and_saveexec_b64 s[20:21], s[4:5]
	s_cbranch_execz .LBB7_816
; %bb.815:
	v_mov_b32_e32 v13, s16
	v_mov_b32_e32 v14, s17
	;; [unrolled: 1-line block ×4, first 2 shown]
	global_store_dwordx4 v[6:7], v[13:16], off offset:8
.LBB7_816:
	s_or_b64 exec, exec, s[20:21]
	s_lshl_b64 s[16:17], s[18:19], 12
	v_mov_b32_e32 v11, s17
	v_add_co_u32_e32 v2, vcc, s16, v2
	v_addc_co_u32_e32 v3, vcc, v3, v11, vcc
	s_movk_i32 s15, 0xff1d
	v_and_or_b32 v9, v9, s15, 34
	s_mov_b32 s16, 0
	v_mov_b32_e32 v11, 58
	v_readfirstlane_b32 s20, v2
	v_readfirstlane_b32 s21, v3
	s_mov_b32 s17, s16
	s_mov_b32 s18, s16
	;; [unrolled: 1-line block ×3, first 2 shown]
	s_nop 1
	global_store_dwordx4 v40, v[9:12], s[20:21]
	s_nop 0
	v_mov_b32_e32 v9, s16
	v_mov_b32_e32 v10, s17
	;; [unrolled: 1-line block ×4, first 2 shown]
	global_store_dwordx4 v40, v[9:12], s[20:21] offset:16
	global_store_dwordx4 v40, v[9:12], s[20:21] offset:32
	;; [unrolled: 1-line block ×3, first 2 shown]
	s_and_saveexec_b64 s[16:17], s[4:5]
	s_cbranch_execz .LBB7_824
; %bb.817:
	v_mov_b32_e32 v11, 0
	global_load_dwordx2 v[14:15], v11, s[48:49] offset:32 glc
	global_load_dwordx2 v[2:3], v11, s[48:49] offset:40
	v_mov_b32_e32 v12, s10
	v_mov_b32_e32 v13, s11
	s_waitcnt vmcnt(0)
	v_readfirstlane_b32 s18, v2
	v_readfirstlane_b32 s19, v3
	s_and_b64 s[18:19], s[18:19], s[10:11]
	s_mul_i32 s15, s19, 24
	s_mul_hi_u32 s19, s18, 24
	s_mul_i32 s18, s18, 24
	s_add_i32 s15, s19, s15
	v_mov_b32_e32 v2, s15
	v_add_co_u32_e32 v9, vcc, s18, v0
	v_addc_co_u32_e32 v10, vcc, v1, v2, vcc
	global_store_dwordx2 v[9:10], v[14:15], off
	s_waitcnt vmcnt(0)
	global_atomic_cmpswap_x2 v[2:3], v11, v[12:15], s[48:49] offset:32 glc
	s_waitcnt vmcnt(0)
	v_cmp_ne_u64_e32 vcc, v[2:3], v[14:15]
	s_and_saveexec_b64 s[18:19], vcc
	s_cbranch_execz .LBB7_820
; %bb.818:
	s_mov_b64 s[20:21], 0
.LBB7_819:                              ; =>This Inner Loop Header: Depth=1
	s_sleep 1
	global_store_dwordx2 v[9:10], v[2:3], off
	v_mov_b32_e32 v0, s10
	v_mov_b32_e32 v1, s11
	s_waitcnt vmcnt(0)
	global_atomic_cmpswap_x2 v[0:1], v11, v[0:3], s[48:49] offset:32 glc
	s_waitcnt vmcnt(0)
	v_cmp_eq_u64_e32 vcc, v[0:1], v[2:3]
	v_mov_b32_e32 v3, v1
	s_or_b64 s[20:21], vcc, s[20:21]
	v_mov_b32_e32 v2, v0
	s_andn2_b64 exec, exec, s[20:21]
	s_cbranch_execnz .LBB7_819
.LBB7_820:
	s_or_b64 exec, exec, s[18:19]
	v_mov_b32_e32 v3, 0
	global_load_dwordx2 v[0:1], v3, s[48:49] offset:16
	s_mov_b64 s[18:19], exec
	v_mbcnt_lo_u32_b32 v2, s18, 0
	v_mbcnt_hi_u32_b32 v2, s19, v2
	v_cmp_eq_u32_e32 vcc, 0, v2
	s_and_saveexec_b64 s[20:21], vcc
	s_cbranch_execz .LBB7_822
; %bb.821:
	s_bcnt1_i32_b64 s15, s[18:19]
	v_mov_b32_e32 v2, s15
	s_waitcnt vmcnt(0)
	global_atomic_add_x2 v[0:1], v[2:3], off offset:8
.LBB7_822:
	s_or_b64 exec, exec, s[20:21]
	s_waitcnt vmcnt(0)
	global_load_dwordx2 v[2:3], v[0:1], off offset:16
	s_waitcnt vmcnt(0)
	v_cmp_eq_u64_e32 vcc, 0, v[2:3]
	s_cbranch_vccnz .LBB7_824
; %bb.823:
	global_load_dword v0, v[0:1], off offset:24
	v_mov_b32_e32 v1, 0
	s_waitcnt vmcnt(0)
	global_store_dwordx2 v[2:3], v[0:1], off
	v_and_b32_e32 v0, 0xffffff, v0
	v_readfirstlane_b32 m0, v0
	s_sendmsg sendmsg(MSG_INTERRUPT)
.LBB7_824:
	s_or_b64 exec, exec, s[16:17]
	s_branch .LBB7_828
.LBB7_825:                              ;   in Loop: Header=BB7_828 Depth=1
	s_or_b64 exec, exec, s[16:17]
	v_readfirstlane_b32 s15, v0
	s_cmp_eq_u32 s15, 0
	s_cbranch_scc1 .LBB7_827
; %bb.826:                              ;   in Loop: Header=BB7_828 Depth=1
	s_sleep 1
	s_cbranch_execnz .LBB7_828
	s_branch .LBB7_830
.LBB7_827:
	s_branch .LBB7_830
.LBB7_828:                              ; =>This Inner Loop Header: Depth=1
	v_mov_b32_e32 v0, 1
	s_and_saveexec_b64 s[16:17], s[4:5]
	s_cbranch_execz .LBB7_825
; %bb.829:                              ;   in Loop: Header=BB7_828 Depth=1
	global_load_dword v0, v[6:7], off offset:20 glc
	s_waitcnt vmcnt(0)
	buffer_wbinvl1_vol
	v_and_b32_e32 v0, 1, v0
	s_branch .LBB7_825
.LBB7_830:
	s_and_saveexec_b64 s[16:17], s[4:5]
	s_cbranch_execz .LBB7_833
; %bb.831:
	v_mov_b32_e32 v9, 0
	global_load_dwordx2 v[2:3], v9, s[48:49] offset:40
	global_load_dwordx2 v[10:11], v9, s[48:49] offset:24 glc
	global_load_dwordx2 v[6:7], v9, s[48:49]
	v_mov_b32_e32 v1, s11
	s_mov_b64 s[4:5], 0
	s_waitcnt vmcnt(2)
	v_add_co_u32_e32 v12, vcc, 1, v2
	v_addc_co_u32_e32 v13, vcc, 0, v3, vcc
	v_add_co_u32_e32 v0, vcc, s10, v12
	v_addc_co_u32_e32 v1, vcc, v13, v1, vcc
	v_cmp_eq_u64_e32 vcc, 0, v[0:1]
	v_cndmask_b32_e32 v1, v1, v13, vcc
	v_cndmask_b32_e32 v0, v0, v12, vcc
	v_and_b32_e32 v3, v1, v3
	v_and_b32_e32 v2, v0, v2
	v_mul_lo_u32 v3, v3, 24
	v_mul_hi_u32 v12, v2, 24
	v_mul_lo_u32 v13, v2, 24
	s_waitcnt vmcnt(1)
	v_mov_b32_e32 v2, v10
	v_add_u32_e32 v3, v12, v3
	s_waitcnt vmcnt(0)
	v_add_co_u32_e32 v6, vcc, v6, v13
	v_addc_co_u32_e32 v7, vcc, v7, v3, vcc
	global_store_dwordx2 v[6:7], v[10:11], off
	v_mov_b32_e32 v3, v11
	s_waitcnt vmcnt(0)
	global_atomic_cmpswap_x2 v[2:3], v9, v[0:3], s[48:49] offset:24 glc
	s_waitcnt vmcnt(0)
	v_cmp_ne_u64_e32 vcc, v[2:3], v[10:11]
	s_and_b64 exec, exec, vcc
	s_cbranch_execz .LBB7_833
.LBB7_832:                              ; =>This Inner Loop Header: Depth=1
	s_sleep 1
	global_store_dwordx2 v[6:7], v[2:3], off
	s_waitcnt vmcnt(0)
	global_atomic_cmpswap_x2 v[10:11], v9, v[0:3], s[48:49] offset:24 glc
	s_waitcnt vmcnt(0)
	v_cmp_eq_u64_e32 vcc, v[10:11], v[2:3]
	v_mov_b32_e32 v2, v10
	s_or_b64 s[4:5], vcc, s[4:5]
	v_mov_b32_e32 v3, v11
	s_andn2_b64 exec, exec, s[4:5]
	s_cbranch_execnz .LBB7_832
.LBB7_833:
	s_or_b64 exec, exec, s[16:17]
	v_readfirstlane_b32 s4, v44
	v_mov_b32_e32 v6, 0
	v_mov_b32_e32 v7, 0
	v_cmp_eq_u32_e64 s[4:5], s4, v44
	s_and_saveexec_b64 s[10:11], s[4:5]
	s_cbranch_execz .LBB7_839
; %bb.834:
	v_mov_b32_e32 v0, 0
	global_load_dwordx2 v[11:12], v0, s[48:49] offset:24 glc
	s_waitcnt vmcnt(0)
	buffer_wbinvl1_vol
	global_load_dwordx2 v[1:2], v0, s[48:49] offset:40
	global_load_dwordx2 v[6:7], v0, s[48:49]
	s_waitcnt vmcnt(1)
	v_and_b32_e32 v1, v1, v11
	v_and_b32_e32 v2, v2, v12
	v_mul_lo_u32 v2, v2, 24
	v_mul_hi_u32 v3, v1, 24
	v_mul_lo_u32 v1, v1, 24
	v_add_u32_e32 v2, v3, v2
	s_waitcnt vmcnt(0)
	v_add_co_u32_e32 v1, vcc, v6, v1
	v_addc_co_u32_e32 v2, vcc, v7, v2, vcc
	global_load_dwordx2 v[9:10], v[1:2], off glc
	s_waitcnt vmcnt(0)
	global_atomic_cmpswap_x2 v[6:7], v0, v[9:12], s[48:49] offset:24 glc
	s_waitcnt vmcnt(0)
	buffer_wbinvl1_vol
	v_cmp_ne_u64_e32 vcc, v[6:7], v[11:12]
	s_and_saveexec_b64 s[16:17], vcc
	s_cbranch_execz .LBB7_838
; %bb.835:
	s_mov_b64 s[18:19], 0
.LBB7_836:                              ; =>This Inner Loop Header: Depth=1
	s_sleep 1
	global_load_dwordx2 v[1:2], v0, s[48:49] offset:40
	global_load_dwordx2 v[9:10], v0, s[48:49]
	v_mov_b32_e32 v12, v7
	v_mov_b32_e32 v11, v6
	s_waitcnt vmcnt(1)
	v_and_b32_e32 v1, v1, v11
	s_waitcnt vmcnt(0)
	v_mad_u64_u32 v[6:7], s[20:21], v1, 24, v[9:10]
	v_and_b32_e32 v2, v2, v12
	v_mov_b32_e32 v1, v7
	v_mad_u64_u32 v[1:2], s[20:21], v2, 24, v[1:2]
	v_mov_b32_e32 v7, v1
	global_load_dwordx2 v[9:10], v[6:7], off glc
	s_waitcnt vmcnt(0)
	global_atomic_cmpswap_x2 v[6:7], v0, v[9:12], s[48:49] offset:24 glc
	s_waitcnt vmcnt(0)
	buffer_wbinvl1_vol
	v_cmp_eq_u64_e32 vcc, v[6:7], v[11:12]
	s_or_b64 s[18:19], vcc, s[18:19]
	s_andn2_b64 exec, exec, s[18:19]
	s_cbranch_execnz .LBB7_836
; %bb.837:
	s_or_b64 exec, exec, s[18:19]
.LBB7_838:
	s_or_b64 exec, exec, s[16:17]
.LBB7_839:
	s_or_b64 exec, exec, s[10:11]
	v_mov_b32_e32 v10, 0
	global_load_dwordx2 v[11:12], v10, s[48:49] offset:40
	global_load_dwordx4 v[0:3], v10, s[48:49]
	v_readfirstlane_b32 s10, v6
	v_readfirstlane_b32 s11, v7
	s_mov_b64 s[16:17], exec
	s_waitcnt vmcnt(1)
	v_readfirstlane_b32 s18, v11
	v_readfirstlane_b32 s19, v12
	s_and_b64 s[18:19], s[10:11], s[18:19]
	s_mul_i32 s15, s19, 24
	s_mul_hi_u32 s20, s18, 24
	s_mul_i32 s21, s18, 24
	s_add_i32 s15, s20, s15
	v_mov_b32_e32 v7, s15
	s_waitcnt vmcnt(0)
	v_add_co_u32_e32 v6, vcc, s21, v0
	v_addc_co_u32_e32 v7, vcc, v1, v7, vcc
	s_and_saveexec_b64 s[20:21], s[4:5]
	s_cbranch_execz .LBB7_841
; %bb.840:
	v_mov_b32_e32 v11, s16
	v_mov_b32_e32 v12, s17
	;; [unrolled: 1-line block ×4, first 2 shown]
	global_store_dwordx4 v[6:7], v[11:14], off offset:8
.LBB7_841:
	s_or_b64 exec, exec, s[20:21]
	s_lshl_b64 s[16:17], s[18:19], 12
	v_mov_b32_e32 v9, s17
	v_add_co_u32_e32 v2, vcc, s16, v2
	v_addc_co_u32_e32 v3, vcc, v3, v9, vcc
	s_mov_b32 s16, 0
	v_mov_b32_e32 v9, 33
	v_mov_b32_e32 v11, v10
	;; [unrolled: 1-line block ×3, first 2 shown]
	v_readfirstlane_b32 s20, v2
	v_readfirstlane_b32 s21, v3
	v_add_co_u32_e32 v13, vcc, v2, v40
	s_mov_b32 s17, s16
	s_mov_b32 s18, s16
	;; [unrolled: 1-line block ×3, first 2 shown]
	s_nop 0
	global_store_dwordx4 v40, v[9:12], s[20:21]
	v_addc_co_u32_e32 v14, vcc, 0, v3, vcc
	v_mov_b32_e32 v9, s16
	v_mov_b32_e32 v10, s17
	;; [unrolled: 1-line block ×4, first 2 shown]
	global_store_dwordx4 v40, v[9:12], s[20:21] offset:16
	global_store_dwordx4 v40, v[9:12], s[20:21] offset:32
	;; [unrolled: 1-line block ×3, first 2 shown]
	s_and_saveexec_b64 s[16:17], s[4:5]
	s_cbranch_execz .LBB7_849
; %bb.842:
	v_mov_b32_e32 v11, 0
	global_load_dwordx2 v[17:18], v11, s[48:49] offset:32 glc
	global_load_dwordx2 v[2:3], v11, s[48:49] offset:40
	v_mov_b32_e32 v15, s10
	v_mov_b32_e32 v16, s11
	s_waitcnt vmcnt(0)
	v_readfirstlane_b32 s18, v2
	v_readfirstlane_b32 s19, v3
	s_and_b64 s[18:19], s[18:19], s[10:11]
	s_mul_i32 s15, s19, 24
	s_mul_hi_u32 s19, s18, 24
	s_mul_i32 s18, s18, 24
	s_add_i32 s15, s19, s15
	v_mov_b32_e32 v2, s15
	v_add_co_u32_e32 v9, vcc, s18, v0
	v_addc_co_u32_e32 v10, vcc, v1, v2, vcc
	global_store_dwordx2 v[9:10], v[17:18], off
	s_waitcnt vmcnt(0)
	global_atomic_cmpswap_x2 v[2:3], v11, v[15:18], s[48:49] offset:32 glc
	s_waitcnt vmcnt(0)
	v_cmp_ne_u64_e32 vcc, v[2:3], v[17:18]
	s_and_saveexec_b64 s[18:19], vcc
	s_cbranch_execz .LBB7_845
; %bb.843:
	s_mov_b64 s[20:21], 0
.LBB7_844:                              ; =>This Inner Loop Header: Depth=1
	s_sleep 1
	global_store_dwordx2 v[9:10], v[2:3], off
	v_mov_b32_e32 v0, s10
	v_mov_b32_e32 v1, s11
	s_waitcnt vmcnt(0)
	global_atomic_cmpswap_x2 v[0:1], v11, v[0:3], s[48:49] offset:32 glc
	s_waitcnt vmcnt(0)
	v_cmp_eq_u64_e32 vcc, v[0:1], v[2:3]
	v_mov_b32_e32 v3, v1
	s_or_b64 s[20:21], vcc, s[20:21]
	v_mov_b32_e32 v2, v0
	s_andn2_b64 exec, exec, s[20:21]
	s_cbranch_execnz .LBB7_844
.LBB7_845:
	s_or_b64 exec, exec, s[18:19]
	v_mov_b32_e32 v3, 0
	global_load_dwordx2 v[0:1], v3, s[48:49] offset:16
	s_mov_b64 s[18:19], exec
	v_mbcnt_lo_u32_b32 v2, s18, 0
	v_mbcnt_hi_u32_b32 v2, s19, v2
	v_cmp_eq_u32_e32 vcc, 0, v2
	s_and_saveexec_b64 s[20:21], vcc
	s_cbranch_execz .LBB7_847
; %bb.846:
	s_bcnt1_i32_b64 s15, s[18:19]
	v_mov_b32_e32 v2, s15
	s_waitcnt vmcnt(0)
	global_atomic_add_x2 v[0:1], v[2:3], off offset:8
.LBB7_847:
	s_or_b64 exec, exec, s[20:21]
	s_waitcnt vmcnt(0)
	global_load_dwordx2 v[2:3], v[0:1], off offset:16
	s_waitcnt vmcnt(0)
	v_cmp_eq_u64_e32 vcc, 0, v[2:3]
	s_cbranch_vccnz .LBB7_849
; %bb.848:
	global_load_dword v0, v[0:1], off offset:24
	v_mov_b32_e32 v1, 0
	s_waitcnt vmcnt(0)
	global_store_dwordx2 v[2:3], v[0:1], off
	v_and_b32_e32 v0, 0xffffff, v0
	v_readfirstlane_b32 m0, v0
	s_sendmsg sendmsg(MSG_INTERRUPT)
.LBB7_849:
	s_or_b64 exec, exec, s[16:17]
	s_branch .LBB7_853
.LBB7_850:                              ;   in Loop: Header=BB7_853 Depth=1
	s_or_b64 exec, exec, s[16:17]
	v_readfirstlane_b32 s15, v0
	s_cmp_eq_u32 s15, 0
	s_cbranch_scc1 .LBB7_852
; %bb.851:                              ;   in Loop: Header=BB7_853 Depth=1
	s_sleep 1
	s_cbranch_execnz .LBB7_853
	s_branch .LBB7_855
.LBB7_852:
	s_branch .LBB7_855
.LBB7_853:                              ; =>This Inner Loop Header: Depth=1
	v_mov_b32_e32 v0, 1
	s_and_saveexec_b64 s[16:17], s[4:5]
	s_cbranch_execz .LBB7_850
; %bb.854:                              ;   in Loop: Header=BB7_853 Depth=1
	global_load_dword v0, v[6:7], off offset:20 glc
	s_waitcnt vmcnt(0)
	buffer_wbinvl1_vol
	v_and_b32_e32 v0, 1, v0
	s_branch .LBB7_850
.LBB7_855:
	global_load_dwordx2 v[0:1], v[13:14], off
	s_and_saveexec_b64 s[16:17], s[4:5]
	s_cbranch_execz .LBB7_858
; %bb.856:
	v_mov_b32_e32 v6, 0
	global_load_dwordx2 v[2:3], v6, s[48:49] offset:40
	global_load_dwordx2 v[13:14], v6, s[48:49] offset:24 glc
	global_load_dwordx2 v[15:16], v6, s[48:49]
	v_mov_b32_e32 v7, s11
	s_mov_b64 s[4:5], 0
	s_waitcnt vmcnt(2)
	v_add_co_u32_e32 v11, vcc, 1, v2
	v_addc_co_u32_e32 v12, vcc, 0, v3, vcc
	v_add_co_u32_e32 v9, vcc, s10, v11
	v_addc_co_u32_e32 v10, vcc, v12, v7, vcc
	v_cmp_eq_u64_e32 vcc, 0, v[9:10]
	v_cndmask_b32_e32 v10, v10, v12, vcc
	v_cndmask_b32_e32 v9, v9, v11, vcc
	v_and_b32_e32 v3, v10, v3
	v_and_b32_e32 v2, v9, v2
	v_mul_lo_u32 v3, v3, 24
	v_mul_hi_u32 v7, v2, 24
	v_mul_lo_u32 v2, v2, 24
	s_waitcnt vmcnt(1)
	v_mov_b32_e32 v11, v13
	v_mov_b32_e32 v12, v14
	v_add_u32_e32 v3, v7, v3
	s_waitcnt vmcnt(0)
	v_add_co_u32_e32 v2, vcc, v15, v2
	v_addc_co_u32_e32 v3, vcc, v16, v3, vcc
	global_store_dwordx2 v[2:3], v[13:14], off
	s_waitcnt vmcnt(0)
	global_atomic_cmpswap_x2 v[11:12], v6, v[9:12], s[48:49] offset:24 glc
	s_waitcnt vmcnt(0)
	v_cmp_ne_u64_e32 vcc, v[11:12], v[13:14]
	s_and_b64 exec, exec, vcc
	s_cbranch_execz .LBB7_858
.LBB7_857:                              ; =>This Inner Loop Header: Depth=1
	s_sleep 1
	global_store_dwordx2 v[2:3], v[11:12], off
	s_waitcnt vmcnt(0)
	global_atomic_cmpswap_x2 v[13:14], v6, v[9:12], s[48:49] offset:24 glc
	s_waitcnt vmcnt(0)
	v_cmp_eq_u64_e32 vcc, v[13:14], v[11:12]
	v_mov_b32_e32 v11, v13
	s_or_b64 s[4:5], vcc, s[4:5]
	v_mov_b32_e32 v12, v14
	s_andn2_b64 exec, exec, s[4:5]
	s_cbranch_execnz .LBB7_857
.LBB7_858:
	s_or_b64 exec, exec, s[16:17]
	s_getpc_b64 s[10:11]
	s_add_u32 s10, s10, .str.7@rel32@lo+4
	s_addc_u32 s11, s11, .str.7@rel32@hi+12
	s_cmp_lg_u64 s[10:11], 0
	s_cbranch_scc0 .LBB7_943
; %bb.859:
	s_waitcnt vmcnt(0)
	v_and_b32_e32 v35, 2, v0
	v_mov_b32_e32 v3, 0
	v_and_b32_e32 v9, -3, v0
	v_mov_b32_e32 v10, v1
	s_mov_b64 s[16:17], 4
	v_mov_b32_e32 v13, 2
	v_mov_b32_e32 v14, 1
	s_branch .LBB7_861
.LBB7_860:                              ;   in Loop: Header=BB7_861 Depth=1
	s_or_b64 exec, exec, s[22:23]
	s_sub_u32 s16, s16, s18
	s_subb_u32 s17, s17, s19
	s_add_u32 s10, s10, s18
	s_addc_u32 s11, s11, s19
	s_cmp_lg_u64 s[16:17], 0
	s_cbranch_scc0 .LBB7_942
.LBB7_861:                              ; =>This Loop Header: Depth=1
                                        ;     Child Loop BB7_864 Depth 2
                                        ;     Child Loop BB7_871 Depth 2
	;; [unrolled: 1-line block ×11, first 2 shown]
	v_cmp_lt_u64_e64 s[4:5], s[16:17], 56
	v_cmp_gt_u64_e64 s[20:21], s[16:17], 7
	s_and_b64 s[4:5], s[4:5], exec
	s_cselect_b32 s19, s17, 0
	s_cselect_b32 s18, s16, 56
	s_and_b64 vcc, exec, s[20:21]
	s_cbranch_vccnz .LBB7_866
; %bb.862:                              ;   in Loop: Header=BB7_861 Depth=1
	v_mov_b32_e32 v17, 0
	s_cmp_eq_u64 s[16:17], 0
	v_mov_b32_e32 v18, 0
	s_mov_b64 s[4:5], 0
	s_cbranch_scc1 .LBB7_865
; %bb.863:                              ;   in Loop: Header=BB7_861 Depth=1
	v_mov_b32_e32 v17, 0
	s_lshl_b64 s[20:21], s[18:19], 3
	s_mov_b64 s[22:23], 0
	v_mov_b32_e32 v18, 0
	s_mov_b64 s[24:25], s[10:11]
.LBB7_864:                              ;   Parent Loop BB7_861 Depth=1
                                        ; =>  This Inner Loop Header: Depth=2
	global_load_ubyte v2, v3, s[24:25]
	s_waitcnt vmcnt(0)
	v_and_b32_e32 v2, 0xffff, v2
	v_lshlrev_b64 v[6:7], s22, v[2:3]
	s_add_u32 s22, s22, 8
	s_addc_u32 s23, s23, 0
	s_add_u32 s24, s24, 1
	s_addc_u32 s25, s25, 0
	v_or_b32_e32 v17, v6, v17
	s_cmp_lg_u32 s20, s22
	v_or_b32_e32 v18, v7, v18
	s_cbranch_scc1 .LBB7_864
.LBB7_865:                              ;   in Loop: Header=BB7_861 Depth=1
	s_mov_b32 s15, 0
	s_andn2_b64 vcc, exec, s[4:5]
	s_mov_b64 s[4:5], s[10:11]
	s_cbranch_vccz .LBB7_867
	s_branch .LBB7_868
.LBB7_866:                              ;   in Loop: Header=BB7_861 Depth=1
                                        ; implicit-def: $vgpr17_vgpr18
                                        ; implicit-def: $sgpr15
	s_mov_b64 s[4:5], s[10:11]
.LBB7_867:                              ;   in Loop: Header=BB7_861 Depth=1
	global_load_dwordx2 v[17:18], v3, s[10:11]
	s_add_i32 s15, s18, -8
	s_add_u32 s4, s10, 8
	s_addc_u32 s5, s11, 0
.LBB7_868:                              ;   in Loop: Header=BB7_861 Depth=1
	s_cmp_gt_u32 s15, 7
	s_cbranch_scc1 .LBB7_872
; %bb.869:                              ;   in Loop: Header=BB7_861 Depth=1
	s_cmp_eq_u32 s15, 0
	s_cbranch_scc1 .LBB7_873
; %bb.870:                              ;   in Loop: Header=BB7_861 Depth=1
	v_mov_b32_e32 v19, 0
	s_mov_b64 s[20:21], 0
	v_mov_b32_e32 v20, 0
	s_mov_b64 s[22:23], 0
.LBB7_871:                              ;   Parent Loop BB7_861 Depth=1
                                        ; =>  This Inner Loop Header: Depth=2
	s_add_u32 s24, s4, s22
	s_addc_u32 s25, s5, s23
	global_load_ubyte v2, v3, s[24:25]
	s_add_u32 s22, s22, 1
	s_addc_u32 s23, s23, 0
	s_waitcnt vmcnt(0)
	v_and_b32_e32 v2, 0xffff, v2
	v_lshlrev_b64 v[6:7], s20, v[2:3]
	s_add_u32 s20, s20, 8
	s_addc_u32 s21, s21, 0
	v_or_b32_e32 v19, v6, v19
	s_cmp_lg_u32 s15, s22
	v_or_b32_e32 v20, v7, v20
	s_cbranch_scc1 .LBB7_871
	s_branch .LBB7_874
.LBB7_872:                              ;   in Loop: Header=BB7_861 Depth=1
                                        ; implicit-def: $vgpr19_vgpr20
                                        ; implicit-def: $sgpr24
	s_branch .LBB7_875
.LBB7_873:                              ;   in Loop: Header=BB7_861 Depth=1
	v_mov_b32_e32 v19, 0
	v_mov_b32_e32 v20, 0
.LBB7_874:                              ;   in Loop: Header=BB7_861 Depth=1
	s_mov_b32 s24, 0
	s_cbranch_execnz .LBB7_876
.LBB7_875:                              ;   in Loop: Header=BB7_861 Depth=1
	global_load_dwordx2 v[19:20], v3, s[4:5]
	s_add_i32 s24, s15, -8
	s_add_u32 s4, s4, 8
	s_addc_u32 s5, s5, 0
.LBB7_876:                              ;   in Loop: Header=BB7_861 Depth=1
	s_cmp_gt_u32 s24, 7
	s_cbranch_scc1 .LBB7_880
; %bb.877:                              ;   in Loop: Header=BB7_861 Depth=1
	s_cmp_eq_u32 s24, 0
	s_cbranch_scc1 .LBB7_881
; %bb.878:                              ;   in Loop: Header=BB7_861 Depth=1
	v_mov_b32_e32 v21, 0
	s_mov_b64 s[20:21], 0
	v_mov_b32_e32 v22, 0
	s_mov_b64 s[22:23], 0
.LBB7_879:                              ;   Parent Loop BB7_861 Depth=1
                                        ; =>  This Inner Loop Header: Depth=2
	s_add_u32 s26, s4, s22
	s_addc_u32 s27, s5, s23
	global_load_ubyte v2, v3, s[26:27]
	s_add_u32 s22, s22, 1
	s_addc_u32 s23, s23, 0
	s_waitcnt vmcnt(0)
	v_and_b32_e32 v2, 0xffff, v2
	v_lshlrev_b64 v[6:7], s20, v[2:3]
	s_add_u32 s20, s20, 8
	s_addc_u32 s21, s21, 0
	v_or_b32_e32 v21, v6, v21
	s_cmp_lg_u32 s24, s22
	v_or_b32_e32 v22, v7, v22
	s_cbranch_scc1 .LBB7_879
	s_branch .LBB7_882
.LBB7_880:                              ;   in Loop: Header=BB7_861 Depth=1
                                        ; implicit-def: $sgpr15
	s_branch .LBB7_883
.LBB7_881:                              ;   in Loop: Header=BB7_861 Depth=1
	v_mov_b32_e32 v21, 0
	v_mov_b32_e32 v22, 0
.LBB7_882:                              ;   in Loop: Header=BB7_861 Depth=1
	s_mov_b32 s15, 0
	s_cbranch_execnz .LBB7_884
.LBB7_883:                              ;   in Loop: Header=BB7_861 Depth=1
	global_load_dwordx2 v[21:22], v3, s[4:5]
	s_add_i32 s15, s24, -8
	s_add_u32 s4, s4, 8
	s_addc_u32 s5, s5, 0
.LBB7_884:                              ;   in Loop: Header=BB7_861 Depth=1
	s_cmp_gt_u32 s15, 7
	s_cbranch_scc1 .LBB7_888
; %bb.885:                              ;   in Loop: Header=BB7_861 Depth=1
	s_cmp_eq_u32 s15, 0
	s_cbranch_scc1 .LBB7_889
; %bb.886:                              ;   in Loop: Header=BB7_861 Depth=1
	v_mov_b32_e32 v23, 0
	s_mov_b64 s[20:21], 0
	v_mov_b32_e32 v24, 0
	s_mov_b64 s[22:23], 0
.LBB7_887:                              ;   Parent Loop BB7_861 Depth=1
                                        ; =>  This Inner Loop Header: Depth=2
	s_add_u32 s24, s4, s22
	s_addc_u32 s25, s5, s23
	global_load_ubyte v2, v3, s[24:25]
	s_add_u32 s22, s22, 1
	s_addc_u32 s23, s23, 0
	s_waitcnt vmcnt(0)
	v_and_b32_e32 v2, 0xffff, v2
	v_lshlrev_b64 v[6:7], s20, v[2:3]
	s_add_u32 s20, s20, 8
	s_addc_u32 s21, s21, 0
	v_or_b32_e32 v23, v6, v23
	s_cmp_lg_u32 s15, s22
	v_or_b32_e32 v24, v7, v24
	s_cbranch_scc1 .LBB7_887
	s_branch .LBB7_890
.LBB7_888:                              ;   in Loop: Header=BB7_861 Depth=1
                                        ; implicit-def: $vgpr23_vgpr24
                                        ; implicit-def: $sgpr24
	s_branch .LBB7_891
.LBB7_889:                              ;   in Loop: Header=BB7_861 Depth=1
	v_mov_b32_e32 v23, 0
	v_mov_b32_e32 v24, 0
.LBB7_890:                              ;   in Loop: Header=BB7_861 Depth=1
	s_mov_b32 s24, 0
	s_cbranch_execnz .LBB7_892
.LBB7_891:                              ;   in Loop: Header=BB7_861 Depth=1
	global_load_dwordx2 v[23:24], v3, s[4:5]
	s_add_i32 s24, s15, -8
	s_add_u32 s4, s4, 8
	s_addc_u32 s5, s5, 0
.LBB7_892:                              ;   in Loop: Header=BB7_861 Depth=1
	s_cmp_gt_u32 s24, 7
	s_cbranch_scc1 .LBB7_896
; %bb.893:                              ;   in Loop: Header=BB7_861 Depth=1
	s_cmp_eq_u32 s24, 0
	s_cbranch_scc1 .LBB7_897
; %bb.894:                              ;   in Loop: Header=BB7_861 Depth=1
	v_mov_b32_e32 v25, 0
	s_mov_b64 s[20:21], 0
	v_mov_b32_e32 v26, 0
	s_mov_b64 s[22:23], 0
.LBB7_895:                              ;   Parent Loop BB7_861 Depth=1
                                        ; =>  This Inner Loop Header: Depth=2
	s_add_u32 s26, s4, s22
	s_addc_u32 s27, s5, s23
	global_load_ubyte v2, v3, s[26:27]
	s_add_u32 s22, s22, 1
	s_addc_u32 s23, s23, 0
	s_waitcnt vmcnt(0)
	v_and_b32_e32 v2, 0xffff, v2
	v_lshlrev_b64 v[6:7], s20, v[2:3]
	s_add_u32 s20, s20, 8
	s_addc_u32 s21, s21, 0
	v_or_b32_e32 v25, v6, v25
	s_cmp_lg_u32 s24, s22
	v_or_b32_e32 v26, v7, v26
	s_cbranch_scc1 .LBB7_895
	s_branch .LBB7_898
.LBB7_896:                              ;   in Loop: Header=BB7_861 Depth=1
                                        ; implicit-def: $sgpr15
	s_branch .LBB7_899
.LBB7_897:                              ;   in Loop: Header=BB7_861 Depth=1
	v_mov_b32_e32 v25, 0
	v_mov_b32_e32 v26, 0
.LBB7_898:                              ;   in Loop: Header=BB7_861 Depth=1
	s_mov_b32 s15, 0
	s_cbranch_execnz .LBB7_900
.LBB7_899:                              ;   in Loop: Header=BB7_861 Depth=1
	global_load_dwordx2 v[25:26], v3, s[4:5]
	s_add_i32 s15, s24, -8
	s_add_u32 s4, s4, 8
	s_addc_u32 s5, s5, 0
.LBB7_900:                              ;   in Loop: Header=BB7_861 Depth=1
	s_cmp_gt_u32 s15, 7
	s_cbranch_scc1 .LBB7_904
; %bb.901:                              ;   in Loop: Header=BB7_861 Depth=1
	s_cmp_eq_u32 s15, 0
	s_cbranch_scc1 .LBB7_905
; %bb.902:                              ;   in Loop: Header=BB7_861 Depth=1
	v_mov_b32_e32 v27, 0
	s_mov_b64 s[20:21], 0
	v_mov_b32_e32 v28, 0
	s_mov_b64 s[22:23], 0
.LBB7_903:                              ;   Parent Loop BB7_861 Depth=1
                                        ; =>  This Inner Loop Header: Depth=2
	s_add_u32 s24, s4, s22
	s_addc_u32 s25, s5, s23
	global_load_ubyte v2, v3, s[24:25]
	s_add_u32 s22, s22, 1
	s_addc_u32 s23, s23, 0
	s_waitcnt vmcnt(0)
	v_and_b32_e32 v2, 0xffff, v2
	v_lshlrev_b64 v[6:7], s20, v[2:3]
	s_add_u32 s20, s20, 8
	s_addc_u32 s21, s21, 0
	v_or_b32_e32 v27, v6, v27
	s_cmp_lg_u32 s15, s22
	v_or_b32_e32 v28, v7, v28
	s_cbranch_scc1 .LBB7_903
	s_branch .LBB7_906
.LBB7_904:                              ;   in Loop: Header=BB7_861 Depth=1
                                        ; implicit-def: $vgpr27_vgpr28
                                        ; implicit-def: $sgpr24
	s_branch .LBB7_907
.LBB7_905:                              ;   in Loop: Header=BB7_861 Depth=1
	v_mov_b32_e32 v27, 0
	v_mov_b32_e32 v28, 0
.LBB7_906:                              ;   in Loop: Header=BB7_861 Depth=1
	s_mov_b32 s24, 0
	s_cbranch_execnz .LBB7_908
.LBB7_907:                              ;   in Loop: Header=BB7_861 Depth=1
	global_load_dwordx2 v[27:28], v3, s[4:5]
	s_add_i32 s24, s15, -8
	s_add_u32 s4, s4, 8
	s_addc_u32 s5, s5, 0
.LBB7_908:                              ;   in Loop: Header=BB7_861 Depth=1
	s_cmp_gt_u32 s24, 7
	s_cbranch_scc1 .LBB7_912
; %bb.909:                              ;   in Loop: Header=BB7_861 Depth=1
	s_cmp_eq_u32 s24, 0
	s_cbranch_scc1 .LBB7_913
; %bb.910:                              ;   in Loop: Header=BB7_861 Depth=1
	v_mov_b32_e32 v29, 0
	s_mov_b64 s[20:21], 0
	v_mov_b32_e32 v30, 0
	s_mov_b64 s[22:23], s[4:5]
.LBB7_911:                              ;   Parent Loop BB7_861 Depth=1
                                        ; =>  This Inner Loop Header: Depth=2
	global_load_ubyte v2, v3, s[22:23]
	s_add_i32 s24, s24, -1
	s_waitcnt vmcnt(0)
	v_and_b32_e32 v2, 0xffff, v2
	v_lshlrev_b64 v[6:7], s20, v[2:3]
	s_add_u32 s20, s20, 8
	s_addc_u32 s21, s21, 0
	s_add_u32 s22, s22, 1
	s_addc_u32 s23, s23, 0
	v_or_b32_e32 v29, v6, v29
	s_cmp_lg_u32 s24, 0
	v_or_b32_e32 v30, v7, v30
	s_cbranch_scc1 .LBB7_911
	s_branch .LBB7_914
.LBB7_912:                              ;   in Loop: Header=BB7_861 Depth=1
	s_branch .LBB7_915
.LBB7_913:                              ;   in Loop: Header=BB7_861 Depth=1
	v_mov_b32_e32 v29, 0
	v_mov_b32_e32 v30, 0
.LBB7_914:                              ;   in Loop: Header=BB7_861 Depth=1
	s_cbranch_execnz .LBB7_916
.LBB7_915:                              ;   in Loop: Header=BB7_861 Depth=1
	global_load_dwordx2 v[29:30], v3, s[4:5]
.LBB7_916:                              ;   in Loop: Header=BB7_861 Depth=1
	v_readfirstlane_b32 s4, v44
	v_mov_b32_e32 v6, 0
	v_mov_b32_e32 v7, 0
	v_cmp_eq_u32_e64 s[4:5], s4, v44
	s_and_saveexec_b64 s[20:21], s[4:5]
	s_cbranch_execz .LBB7_922
; %bb.917:                              ;   in Loop: Header=BB7_861 Depth=1
	global_load_dwordx2 v[33:34], v3, s[48:49] offset:24 glc
	s_waitcnt vmcnt(0)
	buffer_wbinvl1_vol
	global_load_dwordx2 v[6:7], v3, s[48:49] offset:40
	global_load_dwordx2 v[11:12], v3, s[48:49]
	s_waitcnt vmcnt(1)
	v_and_b32_e32 v2, v6, v33
	v_and_b32_e32 v6, v7, v34
	v_mul_lo_u32 v6, v6, 24
	v_mul_hi_u32 v7, v2, 24
	v_mul_lo_u32 v2, v2, 24
	v_add_u32_e32 v7, v7, v6
	s_waitcnt vmcnt(0)
	v_add_co_u32_e32 v6, vcc, v11, v2
	v_addc_co_u32_e32 v7, vcc, v12, v7, vcc
	global_load_dwordx2 v[31:32], v[6:7], off glc
	s_waitcnt vmcnt(0)
	global_atomic_cmpswap_x2 v[6:7], v3, v[31:34], s[48:49] offset:24 glc
	s_waitcnt vmcnt(0)
	buffer_wbinvl1_vol
	v_cmp_ne_u64_e32 vcc, v[6:7], v[33:34]
	s_and_saveexec_b64 s[22:23], vcc
	s_cbranch_execz .LBB7_921
; %bb.918:                              ;   in Loop: Header=BB7_861 Depth=1
	s_mov_b64 s[24:25], 0
.LBB7_919:                              ;   Parent Loop BB7_861 Depth=1
                                        ; =>  This Inner Loop Header: Depth=2
	s_sleep 1
	global_load_dwordx2 v[11:12], v3, s[48:49] offset:40
	global_load_dwordx2 v[15:16], v3, s[48:49]
	v_mov_b32_e32 v34, v7
	v_mov_b32_e32 v33, v6
	s_waitcnt vmcnt(1)
	v_and_b32_e32 v2, v11, v33
	s_waitcnt vmcnt(0)
	v_mad_u64_u32 v[6:7], s[26:27], v2, 24, v[15:16]
	v_and_b32_e32 v11, v12, v34
	v_mov_b32_e32 v2, v7
	v_mad_u64_u32 v[11:12], s[26:27], v11, 24, v[2:3]
	v_mov_b32_e32 v7, v11
	global_load_dwordx2 v[31:32], v[6:7], off glc
	s_waitcnt vmcnt(0)
	global_atomic_cmpswap_x2 v[6:7], v3, v[31:34], s[48:49] offset:24 glc
	s_waitcnt vmcnt(0)
	buffer_wbinvl1_vol
	v_cmp_eq_u64_e32 vcc, v[6:7], v[33:34]
	s_or_b64 s[24:25], vcc, s[24:25]
	s_andn2_b64 exec, exec, s[24:25]
	s_cbranch_execnz .LBB7_919
; %bb.920:                              ;   in Loop: Header=BB7_861 Depth=1
	s_or_b64 exec, exec, s[24:25]
.LBB7_921:                              ;   in Loop: Header=BB7_861 Depth=1
	s_or_b64 exec, exec, s[22:23]
.LBB7_922:                              ;   in Loop: Header=BB7_861 Depth=1
	s_or_b64 exec, exec, s[20:21]
	global_load_dwordx2 v[11:12], v3, s[48:49] offset:40
	global_load_dwordx4 v[31:34], v3, s[48:49]
	v_readfirstlane_b32 s20, v6
	v_readfirstlane_b32 s21, v7
	s_mov_b64 s[22:23], exec
	s_waitcnt vmcnt(1)
	v_readfirstlane_b32 s24, v11
	v_readfirstlane_b32 s25, v12
	s_and_b64 s[24:25], s[20:21], s[24:25]
	s_mul_i32 s15, s25, 24
	s_mul_hi_u32 s26, s24, 24
	s_mul_i32 s27, s24, 24
	s_add_i32 s15, s26, s15
	v_mov_b32_e32 v2, s15
	s_waitcnt vmcnt(0)
	v_add_co_u32_e32 v6, vcc, s27, v31
	v_addc_co_u32_e32 v7, vcc, v32, v2, vcc
	s_and_saveexec_b64 s[26:27], s[4:5]
	s_cbranch_execz .LBB7_924
; %bb.923:                              ;   in Loop: Header=BB7_861 Depth=1
	v_mov_b32_e32 v11, s22
	v_mov_b32_e32 v12, s23
	global_store_dwordx4 v[6:7], v[11:14], off offset:8
.LBB7_924:                              ;   in Loop: Header=BB7_861 Depth=1
	s_or_b64 exec, exec, s[26:27]
	s_lshl_b64 s[22:23], s[24:25], 12
	v_mov_b32_e32 v2, s23
	v_add_co_u32_e32 v33, vcc, s22, v33
	v_addc_co_u32_e32 v34, vcc, v34, v2, vcc
	v_cmp_gt_u64_e64 vcc, s[16:17], 56
	v_or_b32_e32 v2, 0, v10
	v_or_b32_e32 v11, v9, v35
	s_lshl_b32 s15, s18, 2
	v_cndmask_b32_e32 v16, v2, v10, vcc
	v_cndmask_b32_e32 v2, v11, v9, vcc
	s_add_i32 s15, s15, 28
	s_and_b32 s15, s15, 0x1e0
	v_and_b32_e32 v2, 0xffffff1f, v2
	v_or_b32_e32 v15, s15, v2
	v_readfirstlane_b32 s22, v33
	v_readfirstlane_b32 s23, v34
	s_nop 4
	global_store_dwordx4 v40, v[15:18], s[22:23]
	global_store_dwordx4 v40, v[19:22], s[22:23] offset:16
	global_store_dwordx4 v40, v[23:26], s[22:23] offset:32
	;; [unrolled: 1-line block ×3, first 2 shown]
	s_and_saveexec_b64 s[22:23], s[4:5]
	s_cbranch_execz .LBB7_932
; %bb.925:                              ;   in Loop: Header=BB7_861 Depth=1
	global_load_dwordx2 v[19:20], v3, s[48:49] offset:32 glc
	global_load_dwordx2 v[9:10], v3, s[48:49] offset:40
	v_mov_b32_e32 v17, s20
	v_mov_b32_e32 v18, s21
	s_waitcnt vmcnt(0)
	v_readfirstlane_b32 s24, v9
	v_readfirstlane_b32 s25, v10
	s_and_b64 s[24:25], s[24:25], s[20:21]
	s_mul_i32 s15, s25, 24
	s_mul_hi_u32 s25, s24, 24
	s_mul_i32 s24, s24, 24
	s_add_i32 s15, s25, s15
	v_mov_b32_e32 v2, s15
	v_add_co_u32_e32 v15, vcc, s24, v31
	v_addc_co_u32_e32 v16, vcc, v32, v2, vcc
	global_store_dwordx2 v[15:16], v[19:20], off
	s_waitcnt vmcnt(0)
	global_atomic_cmpswap_x2 v[11:12], v3, v[17:20], s[48:49] offset:32 glc
	s_waitcnt vmcnt(0)
	v_cmp_ne_u64_e32 vcc, v[11:12], v[19:20]
	s_and_saveexec_b64 s[24:25], vcc
	s_cbranch_execz .LBB7_928
; %bb.926:                              ;   in Loop: Header=BB7_861 Depth=1
	s_mov_b64 s[26:27], 0
.LBB7_927:                              ;   Parent Loop BB7_861 Depth=1
                                        ; =>  This Inner Loop Header: Depth=2
	s_sleep 1
	global_store_dwordx2 v[15:16], v[11:12], off
	v_mov_b32_e32 v9, s20
	v_mov_b32_e32 v10, s21
	s_waitcnt vmcnt(0)
	global_atomic_cmpswap_x2 v[9:10], v3, v[9:12], s[48:49] offset:32 glc
	s_waitcnt vmcnt(0)
	v_cmp_eq_u64_e32 vcc, v[9:10], v[11:12]
	v_mov_b32_e32 v12, v10
	s_or_b64 s[26:27], vcc, s[26:27]
	v_mov_b32_e32 v11, v9
	s_andn2_b64 exec, exec, s[26:27]
	s_cbranch_execnz .LBB7_927
.LBB7_928:                              ;   in Loop: Header=BB7_861 Depth=1
	s_or_b64 exec, exec, s[24:25]
	global_load_dwordx2 v[9:10], v3, s[48:49] offset:16
	s_mov_b64 s[26:27], exec
	v_mbcnt_lo_u32_b32 v2, s26, 0
	v_mbcnt_hi_u32_b32 v2, s27, v2
	v_cmp_eq_u32_e32 vcc, 0, v2
	s_and_saveexec_b64 s[24:25], vcc
	s_cbranch_execz .LBB7_930
; %bb.929:                              ;   in Loop: Header=BB7_861 Depth=1
	s_bcnt1_i32_b64 s15, s[26:27]
	v_mov_b32_e32 v2, s15
	s_waitcnt vmcnt(0)
	global_atomic_add_x2 v[9:10], v[2:3], off offset:8
.LBB7_930:                              ;   in Loop: Header=BB7_861 Depth=1
	s_or_b64 exec, exec, s[24:25]
	s_waitcnt vmcnt(0)
	global_load_dwordx2 v[11:12], v[9:10], off offset:16
	s_waitcnt vmcnt(0)
	v_cmp_eq_u64_e32 vcc, 0, v[11:12]
	s_cbranch_vccnz .LBB7_932
; %bb.931:                              ;   in Loop: Header=BB7_861 Depth=1
	global_load_dword v2, v[9:10], off offset:24
	s_waitcnt vmcnt(0)
	global_store_dwordx2 v[11:12], v[2:3], off
	v_and_b32_e32 v2, 0xffffff, v2
	v_readfirstlane_b32 m0, v2
	s_sendmsg sendmsg(MSG_INTERRUPT)
.LBB7_932:                              ;   in Loop: Header=BB7_861 Depth=1
	s_or_b64 exec, exec, s[22:23]
	v_add_co_u32_e32 v9, vcc, v33, v40
	v_addc_co_u32_e32 v10, vcc, 0, v34, vcc
	s_branch .LBB7_936
.LBB7_933:                              ;   in Loop: Header=BB7_936 Depth=2
	s_or_b64 exec, exec, s[22:23]
	v_readfirstlane_b32 s15, v2
	s_cmp_eq_u32 s15, 0
	s_cbranch_scc1 .LBB7_935
; %bb.934:                              ;   in Loop: Header=BB7_936 Depth=2
	s_sleep 1
	s_cbranch_execnz .LBB7_936
	s_branch .LBB7_938
.LBB7_935:                              ;   in Loop: Header=BB7_861 Depth=1
	s_branch .LBB7_938
.LBB7_936:                              ;   Parent Loop BB7_861 Depth=1
                                        ; =>  This Inner Loop Header: Depth=2
	v_mov_b32_e32 v2, 1
	s_and_saveexec_b64 s[22:23], s[4:5]
	s_cbranch_execz .LBB7_933
; %bb.937:                              ;   in Loop: Header=BB7_936 Depth=2
	global_load_dword v2, v[6:7], off offset:20 glc
	s_waitcnt vmcnt(0)
	buffer_wbinvl1_vol
	v_and_b32_e32 v2, 1, v2
	s_branch .LBB7_933
.LBB7_938:                              ;   in Loop: Header=BB7_861 Depth=1
	global_load_dwordx4 v[9:12], v[9:10], off
	s_and_saveexec_b64 s[22:23], s[4:5]
	s_cbranch_execz .LBB7_860
; %bb.939:                              ;   in Loop: Header=BB7_861 Depth=1
	global_load_dwordx2 v[6:7], v3, s[48:49] offset:40
	global_load_dwordx2 v[11:12], v3, s[48:49] offset:24 glc
	global_load_dwordx2 v[18:19], v3, s[48:49]
	v_mov_b32_e32 v2, s21
	s_waitcnt vmcnt(2)
	v_add_co_u32_e32 v17, vcc, 1, v6
	v_addc_co_u32_e32 v20, vcc, 0, v7, vcc
	v_add_co_u32_e32 v15, vcc, s20, v17
	v_addc_co_u32_e32 v16, vcc, v20, v2, vcc
	v_cmp_eq_u64_e32 vcc, 0, v[15:16]
	v_cndmask_b32_e32 v16, v16, v20, vcc
	v_cndmask_b32_e32 v15, v15, v17, vcc
	v_and_b32_e32 v2, v16, v7
	v_and_b32_e32 v6, v15, v6
	v_mul_lo_u32 v2, v2, 24
	v_mul_hi_u32 v7, v6, 24
	v_mul_lo_u32 v6, v6, 24
	s_waitcnt vmcnt(1)
	v_mov_b32_e32 v17, v11
	v_add_u32_e32 v2, v7, v2
	s_waitcnt vmcnt(0)
	v_add_co_u32_e32 v6, vcc, v18, v6
	v_addc_co_u32_e32 v7, vcc, v19, v2, vcc
	global_store_dwordx2 v[6:7], v[11:12], off
	v_mov_b32_e32 v18, v12
	s_waitcnt vmcnt(0)
	global_atomic_cmpswap_x2 v[17:18], v3, v[15:18], s[48:49] offset:24 glc
	s_waitcnt vmcnt(0)
	v_cmp_ne_u64_e32 vcc, v[17:18], v[11:12]
	s_and_b64 exec, exec, vcc
	s_cbranch_execz .LBB7_860
; %bb.940:                              ;   in Loop: Header=BB7_861 Depth=1
	s_mov_b64 s[4:5], 0
.LBB7_941:                              ;   Parent Loop BB7_861 Depth=1
                                        ; =>  This Inner Loop Header: Depth=2
	s_sleep 1
	global_store_dwordx2 v[6:7], v[17:18], off
	s_waitcnt vmcnt(0)
	global_atomic_cmpswap_x2 v[11:12], v3, v[15:18], s[48:49] offset:24 glc
	s_waitcnt vmcnt(0)
	v_cmp_eq_u64_e32 vcc, v[11:12], v[17:18]
	v_mov_b32_e32 v18, v12
	s_or_b64 s[4:5], vcc, s[4:5]
	v_mov_b32_e32 v17, v11
	s_andn2_b64 exec, exec, s[4:5]
	s_cbranch_execnz .LBB7_941
	s_branch .LBB7_860
.LBB7_942:
	s_branch .LBB7_970
.LBB7_943:
                                        ; implicit-def: $vgpr9_vgpr10
	s_cbranch_execz .LBB7_970
; %bb.944:
	v_readfirstlane_b32 s4, v44
	v_mov_b32_e32 v6, 0
	v_mov_b32_e32 v7, 0
	v_cmp_eq_u32_e64 s[4:5], s4, v44
	s_and_saveexec_b64 s[10:11], s[4:5]
	s_cbranch_execz .LBB7_950
; %bb.945:
	v_mov_b32_e32 v2, 0
	global_load_dwordx2 v[11:12], v2, s[48:49] offset:24 glc
	s_waitcnt vmcnt(0)
	buffer_wbinvl1_vol
	global_load_dwordx2 v[6:7], v2, s[48:49] offset:40
	global_load_dwordx2 v[9:10], v2, s[48:49]
	s_waitcnt vmcnt(1)
	v_and_b32_e32 v3, v6, v11
	v_and_b32_e32 v6, v7, v12
	v_mul_lo_u32 v6, v6, 24
	v_mul_hi_u32 v7, v3, 24
	v_mul_lo_u32 v3, v3, 24
	v_add_u32_e32 v7, v7, v6
	s_waitcnt vmcnt(0)
	v_add_co_u32_e32 v6, vcc, v9, v3
	v_addc_co_u32_e32 v7, vcc, v10, v7, vcc
	global_load_dwordx2 v[9:10], v[6:7], off glc
	s_waitcnt vmcnt(0)
	global_atomic_cmpswap_x2 v[6:7], v2, v[9:12], s[48:49] offset:24 glc
	s_waitcnt vmcnt(0)
	buffer_wbinvl1_vol
	v_cmp_ne_u64_e32 vcc, v[6:7], v[11:12]
	s_and_saveexec_b64 s[16:17], vcc
	s_cbranch_execz .LBB7_949
; %bb.946:
	s_mov_b64 s[18:19], 0
.LBB7_947:                              ; =>This Inner Loop Header: Depth=1
	s_sleep 1
	global_load_dwordx2 v[9:10], v2, s[48:49] offset:40
	global_load_dwordx2 v[13:14], v2, s[48:49]
	v_mov_b32_e32 v12, v7
	v_mov_b32_e32 v11, v6
	s_waitcnt vmcnt(1)
	v_and_b32_e32 v3, v9, v11
	s_waitcnt vmcnt(0)
	v_mad_u64_u32 v[6:7], s[20:21], v3, 24, v[13:14]
	v_and_b32_e32 v9, v10, v12
	v_mov_b32_e32 v3, v7
	v_mad_u64_u32 v[9:10], s[20:21], v9, 24, v[3:4]
	v_mov_b32_e32 v7, v9
	global_load_dwordx2 v[9:10], v[6:7], off glc
	s_waitcnt vmcnt(0)
	global_atomic_cmpswap_x2 v[6:7], v2, v[9:12], s[48:49] offset:24 glc
	s_waitcnt vmcnt(0)
	buffer_wbinvl1_vol
	v_cmp_eq_u64_e32 vcc, v[6:7], v[11:12]
	s_or_b64 s[18:19], vcc, s[18:19]
	s_andn2_b64 exec, exec, s[18:19]
	s_cbranch_execnz .LBB7_947
; %bb.948:
	s_or_b64 exec, exec, s[18:19]
.LBB7_949:
	s_or_b64 exec, exec, s[16:17]
.LBB7_950:
	s_or_b64 exec, exec, s[10:11]
	v_mov_b32_e32 v2, 0
	global_load_dwordx2 v[13:14], v2, s[48:49] offset:40
	global_load_dwordx4 v[9:12], v2, s[48:49]
	v_readfirstlane_b32 s10, v6
	v_readfirstlane_b32 s11, v7
	s_mov_b64 s[16:17], exec
	s_waitcnt vmcnt(1)
	v_readfirstlane_b32 s18, v13
	v_readfirstlane_b32 s19, v14
	s_and_b64 s[18:19], s[10:11], s[18:19]
	s_mul_i32 s15, s19, 24
	s_mul_hi_u32 s20, s18, 24
	s_mul_i32 s21, s18, 24
	s_add_i32 s15, s20, s15
	v_mov_b32_e32 v3, s15
	s_waitcnt vmcnt(0)
	v_add_co_u32_e32 v6, vcc, s21, v9
	v_addc_co_u32_e32 v7, vcc, v10, v3, vcc
	s_and_saveexec_b64 s[20:21], s[4:5]
	s_cbranch_execz .LBB7_952
; %bb.951:
	v_mov_b32_e32 v13, s16
	v_mov_b32_e32 v14, s17
	;; [unrolled: 1-line block ×4, first 2 shown]
	global_store_dwordx4 v[6:7], v[13:16], off offset:8
.LBB7_952:
	s_or_b64 exec, exec, s[20:21]
	s_lshl_b64 s[16:17], s[18:19], 12
	v_mov_b32_e32 v3, s17
	v_add_co_u32_e32 v13, vcc, s16, v11
	v_addc_co_u32_e32 v14, vcc, v12, v3, vcc
	s_movk_i32 s15, 0xff1f
	v_and_or_b32 v0, v0, s15, 32
	s_mov_b32 s16, 0
	v_mov_b32_e32 v3, v2
	v_readfirstlane_b32 s20, v13
	v_readfirstlane_b32 s21, v14
	v_add_co_u32_e32 v11, vcc, v13, v40
	s_mov_b32 s17, s16
	s_mov_b32 s18, s16
	s_mov_b32 s19, s16
	s_nop 0
	global_store_dwordx4 v40, v[0:3], s[20:21]
	v_addc_co_u32_e32 v12, vcc, 0, v14, vcc
	v_mov_b32_e32 v0, s16
	v_mov_b32_e32 v1, s17
	;; [unrolled: 1-line block ×4, first 2 shown]
	global_store_dwordx4 v40, v[0:3], s[20:21] offset:16
	global_store_dwordx4 v40, v[0:3], s[20:21] offset:32
	;; [unrolled: 1-line block ×3, first 2 shown]
	s_and_saveexec_b64 s[16:17], s[4:5]
	s_cbranch_execz .LBB7_960
; %bb.953:
	v_mov_b32_e32 v13, 0
	global_load_dwordx2 v[16:17], v13, s[48:49] offset:32 glc
	global_load_dwordx2 v[0:1], v13, s[48:49] offset:40
	v_mov_b32_e32 v14, s10
	v_mov_b32_e32 v15, s11
	s_waitcnt vmcnt(0)
	v_readfirstlane_b32 s18, v0
	v_readfirstlane_b32 s19, v1
	s_and_b64 s[18:19], s[18:19], s[10:11]
	s_mul_i32 s15, s19, 24
	s_mul_hi_u32 s19, s18, 24
	s_mul_i32 s18, s18, 24
	s_add_i32 s15, s19, s15
	v_mov_b32_e32 v0, s15
	v_add_co_u32_e32 v9, vcc, s18, v9
	v_addc_co_u32_e32 v10, vcc, v10, v0, vcc
	global_store_dwordx2 v[9:10], v[16:17], off
	s_waitcnt vmcnt(0)
	global_atomic_cmpswap_x2 v[2:3], v13, v[14:17], s[48:49] offset:32 glc
	s_waitcnt vmcnt(0)
	v_cmp_ne_u64_e32 vcc, v[2:3], v[16:17]
	s_and_saveexec_b64 s[18:19], vcc
	s_cbranch_execz .LBB7_956
; %bb.954:
	s_mov_b64 s[20:21], 0
.LBB7_955:                              ; =>This Inner Loop Header: Depth=1
	s_sleep 1
	global_store_dwordx2 v[9:10], v[2:3], off
	v_mov_b32_e32 v0, s10
	v_mov_b32_e32 v1, s11
	s_waitcnt vmcnt(0)
	global_atomic_cmpswap_x2 v[0:1], v13, v[0:3], s[48:49] offset:32 glc
	s_waitcnt vmcnt(0)
	v_cmp_eq_u64_e32 vcc, v[0:1], v[2:3]
	v_mov_b32_e32 v3, v1
	s_or_b64 s[20:21], vcc, s[20:21]
	v_mov_b32_e32 v2, v0
	s_andn2_b64 exec, exec, s[20:21]
	s_cbranch_execnz .LBB7_955
.LBB7_956:
	s_or_b64 exec, exec, s[18:19]
	v_mov_b32_e32 v3, 0
	global_load_dwordx2 v[0:1], v3, s[48:49] offset:16
	s_mov_b64 s[18:19], exec
	v_mbcnt_lo_u32_b32 v2, s18, 0
	v_mbcnt_hi_u32_b32 v2, s19, v2
	v_cmp_eq_u32_e32 vcc, 0, v2
	s_and_saveexec_b64 s[20:21], vcc
	s_cbranch_execz .LBB7_958
; %bb.957:
	s_bcnt1_i32_b64 s15, s[18:19]
	v_mov_b32_e32 v2, s15
	s_waitcnt vmcnt(0)
	global_atomic_add_x2 v[0:1], v[2:3], off offset:8
.LBB7_958:
	s_or_b64 exec, exec, s[20:21]
	s_waitcnt vmcnt(0)
	global_load_dwordx2 v[2:3], v[0:1], off offset:16
	s_waitcnt vmcnt(0)
	v_cmp_eq_u64_e32 vcc, 0, v[2:3]
	s_cbranch_vccnz .LBB7_960
; %bb.959:
	global_load_dword v0, v[0:1], off offset:24
	v_mov_b32_e32 v1, 0
	s_waitcnt vmcnt(0)
	global_store_dwordx2 v[2:3], v[0:1], off
	v_and_b32_e32 v0, 0xffffff, v0
	v_readfirstlane_b32 m0, v0
	s_sendmsg sendmsg(MSG_INTERRUPT)
.LBB7_960:
	s_or_b64 exec, exec, s[16:17]
	s_branch .LBB7_964
.LBB7_961:                              ;   in Loop: Header=BB7_964 Depth=1
	s_or_b64 exec, exec, s[16:17]
	v_readfirstlane_b32 s15, v0
	s_cmp_eq_u32 s15, 0
	s_cbranch_scc1 .LBB7_963
; %bb.962:                              ;   in Loop: Header=BB7_964 Depth=1
	s_sleep 1
	s_cbranch_execnz .LBB7_964
	s_branch .LBB7_966
.LBB7_963:
	s_branch .LBB7_966
.LBB7_964:                              ; =>This Inner Loop Header: Depth=1
	v_mov_b32_e32 v0, 1
	s_and_saveexec_b64 s[16:17], s[4:5]
	s_cbranch_execz .LBB7_961
; %bb.965:                              ;   in Loop: Header=BB7_964 Depth=1
	global_load_dword v0, v[6:7], off offset:20 glc
	s_waitcnt vmcnt(0)
	buffer_wbinvl1_vol
	v_and_b32_e32 v0, 1, v0
	s_branch .LBB7_961
.LBB7_966:
	global_load_dwordx2 v[9:10], v[11:12], off
	s_and_saveexec_b64 s[16:17], s[4:5]
	s_cbranch_execz .LBB7_969
; %bb.967:
	v_mov_b32_e32 v11, 0
	global_load_dwordx2 v[2:3], v11, s[48:49] offset:40
	global_load_dwordx2 v[12:13], v11, s[48:49] offset:24 glc
	global_load_dwordx2 v[6:7], v11, s[48:49]
	v_mov_b32_e32 v1, s11
	s_mov_b64 s[4:5], 0
	s_waitcnt vmcnt(2)
	v_add_co_u32_e32 v14, vcc, 1, v2
	v_addc_co_u32_e32 v15, vcc, 0, v3, vcc
	v_add_co_u32_e32 v0, vcc, s10, v14
	v_addc_co_u32_e32 v1, vcc, v15, v1, vcc
	v_cmp_eq_u64_e32 vcc, 0, v[0:1]
	v_cndmask_b32_e32 v1, v1, v15, vcc
	v_cndmask_b32_e32 v0, v0, v14, vcc
	v_and_b32_e32 v3, v1, v3
	v_and_b32_e32 v2, v0, v2
	v_mul_lo_u32 v3, v3, 24
	v_mul_hi_u32 v14, v2, 24
	v_mul_lo_u32 v15, v2, 24
	s_waitcnt vmcnt(1)
	v_mov_b32_e32 v2, v12
	v_add_u32_e32 v3, v14, v3
	s_waitcnt vmcnt(0)
	v_add_co_u32_e32 v6, vcc, v6, v15
	v_addc_co_u32_e32 v7, vcc, v7, v3, vcc
	global_store_dwordx2 v[6:7], v[12:13], off
	v_mov_b32_e32 v3, v13
	s_waitcnt vmcnt(0)
	global_atomic_cmpswap_x2 v[2:3], v11, v[0:3], s[48:49] offset:24 glc
	s_waitcnt vmcnt(0)
	v_cmp_ne_u64_e32 vcc, v[2:3], v[12:13]
	s_and_b64 exec, exec, vcc
	s_cbranch_execz .LBB7_969
.LBB7_968:                              ; =>This Inner Loop Header: Depth=1
	s_sleep 1
	global_store_dwordx2 v[6:7], v[2:3], off
	s_waitcnt vmcnt(0)
	global_atomic_cmpswap_x2 v[12:13], v11, v[0:3], s[48:49] offset:24 glc
	s_waitcnt vmcnt(0)
	v_cmp_eq_u64_e32 vcc, v[12:13], v[2:3]
	v_mov_b32_e32 v2, v12
	s_or_b64 s[4:5], vcc, s[4:5]
	v_mov_b32_e32 v3, v13
	s_andn2_b64 exec, exec, s[4:5]
	s_cbranch_execnz .LBB7_968
.LBB7_969:
	s_or_b64 exec, exec, s[16:17]
.LBB7_970:
	v_readfirstlane_b32 s4, v44
	v_mov_b32_e32 v6, 0
	v_mov_b32_e32 v7, 0
	v_cmp_eq_u32_e64 s[4:5], s4, v44
	s_and_saveexec_b64 s[10:11], s[4:5]
	s_cbranch_execz .LBB7_976
; %bb.971:
	s_waitcnt vmcnt(0)
	v_mov_b32_e32 v0, 0
	global_load_dwordx2 v[13:14], v0, s[48:49] offset:24 glc
	s_waitcnt vmcnt(0)
	buffer_wbinvl1_vol
	global_load_dwordx2 v[1:2], v0, s[48:49] offset:40
	global_load_dwordx2 v[6:7], v0, s[48:49]
	s_waitcnt vmcnt(1)
	v_and_b32_e32 v1, v1, v13
	v_and_b32_e32 v2, v2, v14
	v_mul_lo_u32 v2, v2, 24
	v_mul_hi_u32 v3, v1, 24
	v_mul_lo_u32 v1, v1, 24
	v_add_u32_e32 v2, v3, v2
	s_waitcnt vmcnt(0)
	v_add_co_u32_e32 v1, vcc, v6, v1
	v_addc_co_u32_e32 v2, vcc, v7, v2, vcc
	global_load_dwordx2 v[11:12], v[1:2], off glc
	s_waitcnt vmcnt(0)
	global_atomic_cmpswap_x2 v[6:7], v0, v[11:14], s[48:49] offset:24 glc
	s_waitcnt vmcnt(0)
	buffer_wbinvl1_vol
	v_cmp_ne_u64_e32 vcc, v[6:7], v[13:14]
	s_and_saveexec_b64 s[16:17], vcc
	s_cbranch_execz .LBB7_975
; %bb.972:
	s_mov_b64 s[18:19], 0
.LBB7_973:                              ; =>This Inner Loop Header: Depth=1
	s_sleep 1
	global_load_dwordx2 v[1:2], v0, s[48:49] offset:40
	global_load_dwordx2 v[11:12], v0, s[48:49]
	v_mov_b32_e32 v14, v7
	v_mov_b32_e32 v13, v6
	s_waitcnt vmcnt(1)
	v_and_b32_e32 v1, v1, v13
	s_waitcnt vmcnt(0)
	v_mad_u64_u32 v[6:7], s[20:21], v1, 24, v[11:12]
	v_and_b32_e32 v2, v2, v14
	v_mov_b32_e32 v1, v7
	v_mad_u64_u32 v[1:2], s[20:21], v2, 24, v[1:2]
	v_mov_b32_e32 v7, v1
	global_load_dwordx2 v[11:12], v[6:7], off glc
	s_waitcnt vmcnt(0)
	global_atomic_cmpswap_x2 v[6:7], v0, v[11:14], s[48:49] offset:24 glc
	s_waitcnt vmcnt(0)
	buffer_wbinvl1_vol
	v_cmp_eq_u64_e32 vcc, v[6:7], v[13:14]
	s_or_b64 s[18:19], vcc, s[18:19]
	s_andn2_b64 exec, exec, s[18:19]
	s_cbranch_execnz .LBB7_973
; %bb.974:
	s_or_b64 exec, exec, s[18:19]
.LBB7_975:
	s_or_b64 exec, exec, s[16:17]
.LBB7_976:
	s_or_b64 exec, exec, s[10:11]
	v_mov_b32_e32 v13, 0
	global_load_dwordx2 v[11:12], v13, s[48:49] offset:40
	global_load_dwordx4 v[0:3], v13, s[48:49]
	v_readfirstlane_b32 s10, v6
	v_readfirstlane_b32 s11, v7
	s_mov_b64 s[16:17], exec
	s_waitcnt vmcnt(1)
	v_readfirstlane_b32 s18, v11
	v_readfirstlane_b32 s19, v12
	s_and_b64 s[18:19], s[10:11], s[18:19]
	s_mul_i32 s15, s19, 24
	s_mul_hi_u32 s20, s18, 24
	s_mul_i32 s21, s18, 24
	s_add_i32 s15, s20, s15
	v_mov_b32_e32 v7, s15
	s_waitcnt vmcnt(0)
	v_add_co_u32_e32 v6, vcc, s21, v0
	v_addc_co_u32_e32 v7, vcc, v1, v7, vcc
	s_and_saveexec_b64 s[20:21], s[4:5]
	s_cbranch_execz .LBB7_978
; %bb.977:
	v_mov_b32_e32 v11, s16
	v_mov_b32_e32 v12, s17
	;; [unrolled: 1-line block ×4, first 2 shown]
	global_store_dwordx4 v[6:7], v[11:14], off offset:8
.LBB7_978:
	s_or_b64 exec, exec, s[20:21]
	s_lshl_b64 s[16:17], s[18:19], 12
	v_mov_b32_e32 v11, s17
	v_add_co_u32_e32 v2, vcc, s16, v2
	v_addc_co_u32_e32 v3, vcc, v3, v11, vcc
	s_movk_i32 s15, 0xff1d
	v_and_or_b32 v9, v9, s15, 34
	v_ashrrev_i32_e32 v12, 31, v8
	v_mov_b32_e32 v11, v8
	v_readfirstlane_b32 s20, v2
	v_readfirstlane_b32 s21, v3
	s_mov_b32 s16, 0
	s_mov_b32 s17, s16
	;; [unrolled: 1-line block ×4, first 2 shown]
	s_nop 0
	global_store_dwordx4 v40, v[9:12], s[20:21]
	v_mov_b32_e32 v8, s16
	v_mov_b32_e32 v9, s17
	;; [unrolled: 1-line block ×4, first 2 shown]
	global_store_dwordx4 v40, v[8:11], s[20:21] offset:16
	global_store_dwordx4 v40, v[8:11], s[20:21] offset:32
	;; [unrolled: 1-line block ×3, first 2 shown]
	s_and_saveexec_b64 s[16:17], s[4:5]
	s_cbranch_execz .LBB7_986
; %bb.979:
	v_mov_b32_e32 v10, 0
	global_load_dwordx2 v[13:14], v10, s[48:49] offset:32 glc
	global_load_dwordx2 v[2:3], v10, s[48:49] offset:40
	v_mov_b32_e32 v11, s10
	v_mov_b32_e32 v12, s11
	s_waitcnt vmcnt(0)
	v_readfirstlane_b32 s18, v2
	v_readfirstlane_b32 s19, v3
	s_and_b64 s[18:19], s[18:19], s[10:11]
	s_mul_i32 s15, s19, 24
	s_mul_hi_u32 s19, s18, 24
	s_mul_i32 s18, s18, 24
	s_add_i32 s15, s19, s15
	v_mov_b32_e32 v2, s15
	v_add_co_u32_e32 v8, vcc, s18, v0
	v_addc_co_u32_e32 v9, vcc, v1, v2, vcc
	global_store_dwordx2 v[8:9], v[13:14], off
	s_waitcnt vmcnt(0)
	global_atomic_cmpswap_x2 v[2:3], v10, v[11:14], s[48:49] offset:32 glc
	s_waitcnt vmcnt(0)
	v_cmp_ne_u64_e32 vcc, v[2:3], v[13:14]
	s_and_saveexec_b64 s[18:19], vcc
	s_cbranch_execz .LBB7_982
; %bb.980:
	s_mov_b64 s[20:21], 0
.LBB7_981:                              ; =>This Inner Loop Header: Depth=1
	s_sleep 1
	global_store_dwordx2 v[8:9], v[2:3], off
	v_mov_b32_e32 v0, s10
	v_mov_b32_e32 v1, s11
	s_waitcnt vmcnt(0)
	global_atomic_cmpswap_x2 v[0:1], v10, v[0:3], s[48:49] offset:32 glc
	s_waitcnt vmcnt(0)
	v_cmp_eq_u64_e32 vcc, v[0:1], v[2:3]
	v_mov_b32_e32 v3, v1
	s_or_b64 s[20:21], vcc, s[20:21]
	v_mov_b32_e32 v2, v0
	s_andn2_b64 exec, exec, s[20:21]
	s_cbranch_execnz .LBB7_981
.LBB7_982:
	s_or_b64 exec, exec, s[18:19]
	v_mov_b32_e32 v3, 0
	global_load_dwordx2 v[0:1], v3, s[48:49] offset:16
	s_mov_b64 s[18:19], exec
	v_mbcnt_lo_u32_b32 v2, s18, 0
	v_mbcnt_hi_u32_b32 v2, s19, v2
	v_cmp_eq_u32_e32 vcc, 0, v2
	s_and_saveexec_b64 s[20:21], vcc
	s_cbranch_execz .LBB7_984
; %bb.983:
	s_bcnt1_i32_b64 s15, s[18:19]
	v_mov_b32_e32 v2, s15
	s_waitcnt vmcnt(0)
	global_atomic_add_x2 v[0:1], v[2:3], off offset:8
.LBB7_984:
	s_or_b64 exec, exec, s[20:21]
	s_waitcnt vmcnt(0)
	global_load_dwordx2 v[2:3], v[0:1], off offset:16
	s_waitcnt vmcnt(0)
	v_cmp_eq_u64_e32 vcc, 0, v[2:3]
	s_cbranch_vccnz .LBB7_986
; %bb.985:
	global_load_dword v0, v[0:1], off offset:24
	v_mov_b32_e32 v1, 0
	s_waitcnt vmcnt(0)
	global_store_dwordx2 v[2:3], v[0:1], off
	v_and_b32_e32 v0, 0xffffff, v0
	v_readfirstlane_b32 m0, v0
	s_sendmsg sendmsg(MSG_INTERRUPT)
.LBB7_986:
	s_or_b64 exec, exec, s[16:17]
	s_branch .LBB7_990
.LBB7_987:                              ;   in Loop: Header=BB7_990 Depth=1
	s_or_b64 exec, exec, s[16:17]
	v_readfirstlane_b32 s15, v0
	s_cmp_eq_u32 s15, 0
	s_cbranch_scc1 .LBB7_989
; %bb.988:                              ;   in Loop: Header=BB7_990 Depth=1
	s_sleep 1
	s_cbranch_execnz .LBB7_990
	s_branch .LBB7_992
.LBB7_989:
	s_branch .LBB7_992
.LBB7_990:                              ; =>This Inner Loop Header: Depth=1
	v_mov_b32_e32 v0, 1
	s_and_saveexec_b64 s[16:17], s[4:5]
	s_cbranch_execz .LBB7_987
; %bb.991:                              ;   in Loop: Header=BB7_990 Depth=1
	global_load_dword v0, v[6:7], off offset:20 glc
	s_waitcnt vmcnt(0)
	buffer_wbinvl1_vol
	v_and_b32_e32 v0, 1, v0
	s_branch .LBB7_987
.LBB7_992:
	s_and_saveexec_b64 s[16:17], s[4:5]
	s_cbranch_execz .LBB7_995
; %bb.993:
	v_mov_b32_e32 v8, 0
	global_load_dwordx2 v[2:3], v8, s[48:49] offset:40
	global_load_dwordx2 v[9:10], v8, s[48:49] offset:24 glc
	global_load_dwordx2 v[6:7], v8, s[48:49]
	v_mov_b32_e32 v1, s11
	s_mov_b64 s[4:5], 0
	s_waitcnt vmcnt(2)
	v_add_co_u32_e32 v11, vcc, 1, v2
	v_addc_co_u32_e32 v12, vcc, 0, v3, vcc
	v_add_co_u32_e32 v0, vcc, s10, v11
	v_addc_co_u32_e32 v1, vcc, v12, v1, vcc
	v_cmp_eq_u64_e32 vcc, 0, v[0:1]
	v_cndmask_b32_e32 v1, v1, v12, vcc
	v_cndmask_b32_e32 v0, v0, v11, vcc
	v_and_b32_e32 v3, v1, v3
	v_and_b32_e32 v2, v0, v2
	v_mul_lo_u32 v3, v3, 24
	v_mul_hi_u32 v11, v2, 24
	v_mul_lo_u32 v12, v2, 24
	s_waitcnt vmcnt(1)
	v_mov_b32_e32 v2, v9
	v_add_u32_e32 v3, v11, v3
	s_waitcnt vmcnt(0)
	v_add_co_u32_e32 v6, vcc, v6, v12
	v_addc_co_u32_e32 v7, vcc, v7, v3, vcc
	global_store_dwordx2 v[6:7], v[9:10], off
	v_mov_b32_e32 v3, v10
	s_waitcnt vmcnt(0)
	global_atomic_cmpswap_x2 v[2:3], v8, v[0:3], s[48:49] offset:24 glc
	s_waitcnt vmcnt(0)
	v_cmp_ne_u64_e32 vcc, v[2:3], v[9:10]
	s_and_b64 exec, exec, vcc
	s_cbranch_execz .LBB7_995
.LBB7_994:                              ; =>This Inner Loop Header: Depth=1
	s_sleep 1
	global_store_dwordx2 v[6:7], v[2:3], off
	s_waitcnt vmcnt(0)
	global_atomic_cmpswap_x2 v[9:10], v8, v[0:3], s[48:49] offset:24 glc
	s_waitcnt vmcnt(0)
	v_cmp_eq_u64_e32 vcc, v[9:10], v[2:3]
	v_mov_b32_e32 v2, v9
	s_or_b64 s[4:5], vcc, s[4:5]
	v_mov_b32_e32 v3, v10
	s_andn2_b64 exec, exec, s[4:5]
	s_cbranch_execnz .LBB7_994
.LBB7_995:
	s_or_b64 exec, exec, s[16:17]
	v_readfirstlane_b32 s4, v44
	v_mov_b32_e32 v8, 0
	v_mov_b32_e32 v9, 0
	v_cmp_eq_u32_e64 s[4:5], s4, v44
	s_and_saveexec_b64 s[10:11], s[4:5]
	s_cbranch_execz .LBB7_1001
; %bb.996:
	v_mov_b32_e32 v0, 0
	global_load_dwordx2 v[10:11], v0, s[48:49] offset:24 glc
	s_waitcnt vmcnt(0)
	buffer_wbinvl1_vol
	global_load_dwordx2 v[1:2], v0, s[48:49] offset:40
	global_load_dwordx2 v[6:7], v0, s[48:49]
	s_waitcnt vmcnt(1)
	v_and_b32_e32 v1, v1, v10
	v_and_b32_e32 v2, v2, v11
	v_mul_lo_u32 v2, v2, 24
	v_mul_hi_u32 v3, v1, 24
	v_mul_lo_u32 v1, v1, 24
	v_add_u32_e32 v2, v3, v2
	s_waitcnt vmcnt(0)
	v_add_co_u32_e32 v1, vcc, v6, v1
	v_addc_co_u32_e32 v2, vcc, v7, v2, vcc
	global_load_dwordx2 v[8:9], v[1:2], off glc
	s_waitcnt vmcnt(0)
	global_atomic_cmpswap_x2 v[8:9], v0, v[8:11], s[48:49] offset:24 glc
	s_waitcnt vmcnt(0)
	buffer_wbinvl1_vol
	v_cmp_ne_u64_e32 vcc, v[8:9], v[10:11]
	s_and_saveexec_b64 s[16:17], vcc
	s_cbranch_execz .LBB7_1000
; %bb.997:
	s_mov_b64 s[18:19], 0
.LBB7_998:                              ; =>This Inner Loop Header: Depth=1
	s_sleep 1
	global_load_dwordx2 v[1:2], v0, s[48:49] offset:40
	global_load_dwordx2 v[6:7], v0, s[48:49]
	v_mov_b32_e32 v11, v9
	v_mov_b32_e32 v10, v8
	s_waitcnt vmcnt(1)
	v_and_b32_e32 v1, v1, v10
	s_waitcnt vmcnt(0)
	v_mad_u64_u32 v[6:7], s[20:21], v1, 24, v[6:7]
	v_and_b32_e32 v2, v2, v11
	v_mov_b32_e32 v1, v7
	v_mad_u64_u32 v[1:2], s[20:21], v2, 24, v[1:2]
	v_mov_b32_e32 v7, v1
	global_load_dwordx2 v[8:9], v[6:7], off glc
	s_waitcnt vmcnt(0)
	global_atomic_cmpswap_x2 v[8:9], v0, v[8:11], s[48:49] offset:24 glc
	s_waitcnt vmcnt(0)
	buffer_wbinvl1_vol
	v_cmp_eq_u64_e32 vcc, v[8:9], v[10:11]
	s_or_b64 s[18:19], vcc, s[18:19]
	s_andn2_b64 exec, exec, s[18:19]
	s_cbranch_execnz .LBB7_998
; %bb.999:
	s_or_b64 exec, exec, s[18:19]
.LBB7_1000:
	s_or_b64 exec, exec, s[16:17]
.LBB7_1001:
	s_or_b64 exec, exec, s[10:11]
	v_mov_b32_e32 v7, 0
	global_load_dwordx2 v[10:11], v7, s[48:49] offset:40
	global_load_dwordx4 v[0:3], v7, s[48:49]
	v_readfirstlane_b32 s10, v8
	v_readfirstlane_b32 s11, v9
	s_mov_b64 s[16:17], exec
	s_waitcnt vmcnt(1)
	v_readfirstlane_b32 s18, v10
	v_readfirstlane_b32 s19, v11
	s_and_b64 s[18:19], s[10:11], s[18:19]
	s_mul_i32 s15, s19, 24
	s_mul_hi_u32 s20, s18, 24
	s_mul_i32 s21, s18, 24
	s_add_i32 s15, s20, s15
	v_mov_b32_e32 v6, s15
	s_waitcnt vmcnt(0)
	v_add_co_u32_e32 v10, vcc, s21, v0
	v_addc_co_u32_e32 v11, vcc, v1, v6, vcc
	s_and_saveexec_b64 s[20:21], s[4:5]
	s_cbranch_execz .LBB7_1003
; %bb.1002:
	v_mov_b32_e32 v12, s16
	v_mov_b32_e32 v13, s17
	;; [unrolled: 1-line block ×4, first 2 shown]
	global_store_dwordx4 v[10:11], v[12:15], off offset:8
.LBB7_1003:
	s_or_b64 exec, exec, s[20:21]
	s_lshl_b64 s[16:17], s[18:19], 12
	v_mov_b32_e32 v6, s17
	v_add_co_u32_e32 v2, vcc, s16, v2
	v_addc_co_u32_e32 v3, vcc, v3, v6, vcc
	s_mov_b32 s16, 0
	v_mov_b32_e32 v6, 33
	v_mov_b32_e32 v8, v7
	;; [unrolled: 1-line block ×3, first 2 shown]
	v_readfirstlane_b32 s20, v2
	v_readfirstlane_b32 s21, v3
	v_add_co_u32_e32 v12, vcc, v2, v40
	s_mov_b32 s17, s16
	s_mov_b32 s18, s16
	;; [unrolled: 1-line block ×3, first 2 shown]
	s_nop 0
	global_store_dwordx4 v40, v[6:9], s[20:21]
	v_addc_co_u32_e32 v13, vcc, 0, v3, vcc
	v_mov_b32_e32 v6, s16
	v_mov_b32_e32 v7, s17
	;; [unrolled: 1-line block ×4, first 2 shown]
	global_store_dwordx4 v40, v[6:9], s[20:21] offset:16
	global_store_dwordx4 v40, v[6:9], s[20:21] offset:32
	;; [unrolled: 1-line block ×3, first 2 shown]
	s_and_saveexec_b64 s[16:17], s[4:5]
	s_cbranch_execz .LBB7_1011
; %bb.1004:
	v_mov_b32_e32 v8, 0
	global_load_dwordx2 v[16:17], v8, s[48:49] offset:32 glc
	global_load_dwordx2 v[2:3], v8, s[48:49] offset:40
	v_mov_b32_e32 v14, s10
	v_mov_b32_e32 v15, s11
	s_waitcnt vmcnt(0)
	v_readfirstlane_b32 s18, v2
	v_readfirstlane_b32 s19, v3
	s_and_b64 s[18:19], s[18:19], s[10:11]
	s_mul_i32 s15, s19, 24
	s_mul_hi_u32 s19, s18, 24
	s_mul_i32 s18, s18, 24
	s_add_i32 s15, s19, s15
	v_mov_b32_e32 v2, s15
	v_add_co_u32_e32 v6, vcc, s18, v0
	v_addc_co_u32_e32 v7, vcc, v1, v2, vcc
	global_store_dwordx2 v[6:7], v[16:17], off
	s_waitcnt vmcnt(0)
	global_atomic_cmpswap_x2 v[2:3], v8, v[14:17], s[48:49] offset:32 glc
	s_waitcnt vmcnt(0)
	v_cmp_ne_u64_e32 vcc, v[2:3], v[16:17]
	s_and_saveexec_b64 s[18:19], vcc
	s_cbranch_execz .LBB7_1007
; %bb.1005:
	s_mov_b64 s[20:21], 0
.LBB7_1006:                             ; =>This Inner Loop Header: Depth=1
	s_sleep 1
	global_store_dwordx2 v[6:7], v[2:3], off
	v_mov_b32_e32 v0, s10
	v_mov_b32_e32 v1, s11
	s_waitcnt vmcnt(0)
	global_atomic_cmpswap_x2 v[0:1], v8, v[0:3], s[48:49] offset:32 glc
	s_waitcnt vmcnt(0)
	v_cmp_eq_u64_e32 vcc, v[0:1], v[2:3]
	v_mov_b32_e32 v3, v1
	s_or_b64 s[20:21], vcc, s[20:21]
	v_mov_b32_e32 v2, v0
	s_andn2_b64 exec, exec, s[20:21]
	s_cbranch_execnz .LBB7_1006
.LBB7_1007:
	s_or_b64 exec, exec, s[18:19]
	v_mov_b32_e32 v3, 0
	global_load_dwordx2 v[0:1], v3, s[48:49] offset:16
	s_mov_b64 s[18:19], exec
	v_mbcnt_lo_u32_b32 v2, s18, 0
	v_mbcnt_hi_u32_b32 v2, s19, v2
	v_cmp_eq_u32_e32 vcc, 0, v2
	s_and_saveexec_b64 s[20:21], vcc
	s_cbranch_execz .LBB7_1009
; %bb.1008:
	s_bcnt1_i32_b64 s15, s[18:19]
	v_mov_b32_e32 v2, s15
	s_waitcnt vmcnt(0)
	global_atomic_add_x2 v[0:1], v[2:3], off offset:8
.LBB7_1009:
	s_or_b64 exec, exec, s[20:21]
	s_waitcnt vmcnt(0)
	global_load_dwordx2 v[2:3], v[0:1], off offset:16
	s_waitcnt vmcnt(0)
	v_cmp_eq_u64_e32 vcc, 0, v[2:3]
	s_cbranch_vccnz .LBB7_1011
; %bb.1010:
	global_load_dword v0, v[0:1], off offset:24
	v_mov_b32_e32 v1, 0
	s_waitcnt vmcnt(0)
	global_store_dwordx2 v[2:3], v[0:1], off
	v_and_b32_e32 v0, 0xffffff, v0
	v_readfirstlane_b32 m0, v0
	s_sendmsg sendmsg(MSG_INTERRUPT)
.LBB7_1011:
	s_or_b64 exec, exec, s[16:17]
	s_branch .LBB7_1015
.LBB7_1012:                             ;   in Loop: Header=BB7_1015 Depth=1
	s_or_b64 exec, exec, s[16:17]
	v_readfirstlane_b32 s15, v0
	s_cmp_eq_u32 s15, 0
	s_cbranch_scc1 .LBB7_1014
; %bb.1013:                             ;   in Loop: Header=BB7_1015 Depth=1
	s_sleep 1
	s_cbranch_execnz .LBB7_1015
	s_branch .LBB7_1017
.LBB7_1014:
	s_branch .LBB7_1017
.LBB7_1015:                             ; =>This Inner Loop Header: Depth=1
	v_mov_b32_e32 v0, 1
	s_and_saveexec_b64 s[16:17], s[4:5]
	s_cbranch_execz .LBB7_1012
; %bb.1016:                             ;   in Loop: Header=BB7_1015 Depth=1
	global_load_dword v0, v[10:11], off offset:20 glc
	s_waitcnt vmcnt(0)
	buffer_wbinvl1_vol
	v_and_b32_e32 v0, 1, v0
	s_branch .LBB7_1012
.LBB7_1017:
	global_load_dwordx2 v[0:1], v[12:13], off
	s_and_saveexec_b64 s[16:17], s[4:5]
	s_cbranch_execz .LBB7_1020
; %bb.1018:
	v_mov_b32_e32 v10, 0
	global_load_dwordx2 v[2:3], v10, s[48:49] offset:40
	global_load_dwordx2 v[11:12], v10, s[48:49] offset:24 glc
	global_load_dwordx2 v[13:14], v10, s[48:49]
	v_mov_b32_e32 v7, s11
	s_mov_b64 s[4:5], 0
	s_waitcnt vmcnt(2)
	v_add_co_u32_e32 v8, vcc, 1, v2
	v_addc_co_u32_e32 v9, vcc, 0, v3, vcc
	v_add_co_u32_e32 v6, vcc, s10, v8
	v_addc_co_u32_e32 v7, vcc, v9, v7, vcc
	v_cmp_eq_u64_e32 vcc, 0, v[6:7]
	v_cndmask_b32_e32 v7, v7, v9, vcc
	v_cndmask_b32_e32 v6, v6, v8, vcc
	v_and_b32_e32 v3, v7, v3
	v_and_b32_e32 v2, v6, v2
	v_mul_lo_u32 v3, v3, 24
	v_mul_hi_u32 v9, v2, 24
	v_mul_lo_u32 v2, v2, 24
	s_waitcnt vmcnt(1)
	v_mov_b32_e32 v8, v11
	v_add_u32_e32 v3, v9, v3
	s_waitcnt vmcnt(0)
	v_add_co_u32_e32 v2, vcc, v13, v2
	v_addc_co_u32_e32 v3, vcc, v14, v3, vcc
	global_store_dwordx2 v[2:3], v[11:12], off
	v_mov_b32_e32 v9, v12
	s_waitcnt vmcnt(0)
	global_atomic_cmpswap_x2 v[8:9], v10, v[6:9], s[48:49] offset:24 glc
	s_waitcnt vmcnt(0)
	v_cmp_ne_u64_e32 vcc, v[8:9], v[11:12]
	s_and_b64 exec, exec, vcc
	s_cbranch_execz .LBB7_1020
.LBB7_1019:                             ; =>This Inner Loop Header: Depth=1
	s_sleep 1
	global_store_dwordx2 v[2:3], v[8:9], off
	s_waitcnt vmcnt(0)
	global_atomic_cmpswap_x2 v[11:12], v10, v[6:9], s[48:49] offset:24 glc
	s_waitcnt vmcnt(0)
	v_cmp_eq_u64_e32 vcc, v[11:12], v[8:9]
	v_mov_b32_e32 v8, v11
	s_or_b64 s[4:5], vcc, s[4:5]
	v_mov_b32_e32 v9, v12
	s_andn2_b64 exec, exec, s[4:5]
	s_cbranch_execnz .LBB7_1019
.LBB7_1020:
	s_or_b64 exec, exec, s[16:17]
	s_and_b64 vcc, exec, s[50:51]
	s_cbranch_vccz .LBB7_1105
; %bb.1021:
	s_waitcnt vmcnt(0)
	v_and_b32_e32 v34, 2, v0
	v_mov_b32_e32 v3, 0
	v_and_b32_e32 v6, -3, v0
	v_mov_b32_e32 v7, v1
	s_mov_b64 s[16:17], 3
	v_mov_b32_e32 v10, 2
	v_mov_b32_e32 v11, 1
	s_getpc_b64 s[10:11]
	s_add_u32 s10, s10, .str.6@rel32@lo+4
	s_addc_u32 s11, s11, .str.6@rel32@hi+12
	s_branch .LBB7_1023
.LBB7_1022:                             ;   in Loop: Header=BB7_1023 Depth=1
	s_or_b64 exec, exec, s[22:23]
	s_sub_u32 s16, s16, s18
	s_subb_u32 s17, s17, s19
	s_add_u32 s10, s10, s18
	s_addc_u32 s11, s11, s19
	s_cmp_lg_u64 s[16:17], 0
	s_cbranch_scc0 .LBB7_1104
.LBB7_1023:                             ; =>This Loop Header: Depth=1
                                        ;     Child Loop BB7_1026 Depth 2
                                        ;     Child Loop BB7_1033 Depth 2
	;; [unrolled: 1-line block ×11, first 2 shown]
	v_cmp_lt_u64_e64 s[4:5], s[16:17], 56
	v_cmp_gt_u64_e64 s[20:21], s[16:17], 7
	s_and_b64 s[4:5], s[4:5], exec
	s_cselect_b32 s19, s17, 0
	s_cselect_b32 s18, s16, 56
	s_and_b64 vcc, exec, s[20:21]
	s_cbranch_vccnz .LBB7_1028
; %bb.1024:                             ;   in Loop: Header=BB7_1023 Depth=1
	v_mov_b32_e32 v14, 0
	s_cmp_eq_u64 s[16:17], 0
	v_mov_b32_e32 v15, 0
	s_mov_b64 s[4:5], 0
	s_cbranch_scc1 .LBB7_1027
; %bb.1025:                             ;   in Loop: Header=BB7_1023 Depth=1
	v_mov_b32_e32 v14, 0
	s_lshl_b64 s[20:21], s[18:19], 3
	s_mov_b64 s[22:23], 0
	v_mov_b32_e32 v15, 0
	s_mov_b64 s[24:25], s[10:11]
.LBB7_1026:                             ;   Parent Loop BB7_1023 Depth=1
                                        ; =>  This Inner Loop Header: Depth=2
	global_load_ubyte v2, v3, s[24:25]
	s_waitcnt vmcnt(0)
	v_and_b32_e32 v2, 0xffff, v2
	v_lshlrev_b64 v[8:9], s22, v[2:3]
	s_add_u32 s22, s22, 8
	s_addc_u32 s23, s23, 0
	s_add_u32 s24, s24, 1
	s_addc_u32 s25, s25, 0
	v_or_b32_e32 v14, v8, v14
	s_cmp_lg_u32 s20, s22
	v_or_b32_e32 v15, v9, v15
	s_cbranch_scc1 .LBB7_1026
.LBB7_1027:                             ;   in Loop: Header=BB7_1023 Depth=1
	s_mov_b32 s15, 0
	s_andn2_b64 vcc, exec, s[4:5]
	s_mov_b64 s[4:5], s[10:11]
	s_cbranch_vccz .LBB7_1029
	s_branch .LBB7_1030
.LBB7_1028:                             ;   in Loop: Header=BB7_1023 Depth=1
                                        ; implicit-def: $vgpr14_vgpr15
                                        ; implicit-def: $sgpr15
	s_mov_b64 s[4:5], s[10:11]
.LBB7_1029:                             ;   in Loop: Header=BB7_1023 Depth=1
	global_load_dwordx2 v[14:15], v3, s[10:11]
	s_add_i32 s15, s18, -8
	s_add_u32 s4, s10, 8
	s_addc_u32 s5, s11, 0
.LBB7_1030:                             ;   in Loop: Header=BB7_1023 Depth=1
	s_cmp_gt_u32 s15, 7
	s_cbranch_scc1 .LBB7_1034
; %bb.1031:                             ;   in Loop: Header=BB7_1023 Depth=1
	s_cmp_eq_u32 s15, 0
	s_cbranch_scc1 .LBB7_1035
; %bb.1032:                             ;   in Loop: Header=BB7_1023 Depth=1
	v_mov_b32_e32 v16, 0
	s_mov_b64 s[20:21], 0
	v_mov_b32_e32 v17, 0
	s_mov_b64 s[22:23], 0
.LBB7_1033:                             ;   Parent Loop BB7_1023 Depth=1
                                        ; =>  This Inner Loop Header: Depth=2
	s_add_u32 s24, s4, s22
	s_addc_u32 s25, s5, s23
	global_load_ubyte v2, v3, s[24:25]
	s_add_u32 s22, s22, 1
	s_addc_u32 s23, s23, 0
	s_waitcnt vmcnt(0)
	v_and_b32_e32 v2, 0xffff, v2
	v_lshlrev_b64 v[8:9], s20, v[2:3]
	s_add_u32 s20, s20, 8
	s_addc_u32 s21, s21, 0
	v_or_b32_e32 v16, v8, v16
	s_cmp_lg_u32 s15, s22
	v_or_b32_e32 v17, v9, v17
	s_cbranch_scc1 .LBB7_1033
	s_branch .LBB7_1036
.LBB7_1034:                             ;   in Loop: Header=BB7_1023 Depth=1
                                        ; implicit-def: $vgpr16_vgpr17
                                        ; implicit-def: $sgpr24
	s_branch .LBB7_1037
.LBB7_1035:                             ;   in Loop: Header=BB7_1023 Depth=1
	v_mov_b32_e32 v16, 0
	v_mov_b32_e32 v17, 0
.LBB7_1036:                             ;   in Loop: Header=BB7_1023 Depth=1
	s_mov_b32 s24, 0
	s_cbranch_execnz .LBB7_1038
.LBB7_1037:                             ;   in Loop: Header=BB7_1023 Depth=1
	global_load_dwordx2 v[16:17], v3, s[4:5]
	s_add_i32 s24, s15, -8
	s_add_u32 s4, s4, 8
	s_addc_u32 s5, s5, 0
.LBB7_1038:                             ;   in Loop: Header=BB7_1023 Depth=1
	s_cmp_gt_u32 s24, 7
	s_cbranch_scc1 .LBB7_1042
; %bb.1039:                             ;   in Loop: Header=BB7_1023 Depth=1
	s_cmp_eq_u32 s24, 0
	s_cbranch_scc1 .LBB7_1043
; %bb.1040:                             ;   in Loop: Header=BB7_1023 Depth=1
	v_mov_b32_e32 v18, 0
	s_mov_b64 s[20:21], 0
	v_mov_b32_e32 v19, 0
	s_mov_b64 s[22:23], 0
.LBB7_1041:                             ;   Parent Loop BB7_1023 Depth=1
                                        ; =>  This Inner Loop Header: Depth=2
	s_add_u32 s26, s4, s22
	s_addc_u32 s27, s5, s23
	global_load_ubyte v2, v3, s[26:27]
	s_add_u32 s22, s22, 1
	s_addc_u32 s23, s23, 0
	s_waitcnt vmcnt(0)
	v_and_b32_e32 v2, 0xffff, v2
	v_lshlrev_b64 v[8:9], s20, v[2:3]
	s_add_u32 s20, s20, 8
	s_addc_u32 s21, s21, 0
	v_or_b32_e32 v18, v8, v18
	s_cmp_lg_u32 s24, s22
	v_or_b32_e32 v19, v9, v19
	s_cbranch_scc1 .LBB7_1041
	s_branch .LBB7_1044
.LBB7_1042:                             ;   in Loop: Header=BB7_1023 Depth=1
                                        ; implicit-def: $sgpr15
	s_branch .LBB7_1045
.LBB7_1043:                             ;   in Loop: Header=BB7_1023 Depth=1
	v_mov_b32_e32 v18, 0
	v_mov_b32_e32 v19, 0
.LBB7_1044:                             ;   in Loop: Header=BB7_1023 Depth=1
	s_mov_b32 s15, 0
	s_cbranch_execnz .LBB7_1046
.LBB7_1045:                             ;   in Loop: Header=BB7_1023 Depth=1
	global_load_dwordx2 v[18:19], v3, s[4:5]
	s_add_i32 s15, s24, -8
	s_add_u32 s4, s4, 8
	s_addc_u32 s5, s5, 0
.LBB7_1046:                             ;   in Loop: Header=BB7_1023 Depth=1
	s_cmp_gt_u32 s15, 7
	s_cbranch_scc1 .LBB7_1050
; %bb.1047:                             ;   in Loop: Header=BB7_1023 Depth=1
	s_cmp_eq_u32 s15, 0
	s_cbranch_scc1 .LBB7_1051
; %bb.1048:                             ;   in Loop: Header=BB7_1023 Depth=1
	v_mov_b32_e32 v20, 0
	s_mov_b64 s[20:21], 0
	v_mov_b32_e32 v21, 0
	s_mov_b64 s[22:23], 0
.LBB7_1049:                             ;   Parent Loop BB7_1023 Depth=1
                                        ; =>  This Inner Loop Header: Depth=2
	s_add_u32 s24, s4, s22
	s_addc_u32 s25, s5, s23
	global_load_ubyte v2, v3, s[24:25]
	s_add_u32 s22, s22, 1
	s_addc_u32 s23, s23, 0
	s_waitcnt vmcnt(0)
	v_and_b32_e32 v2, 0xffff, v2
	v_lshlrev_b64 v[8:9], s20, v[2:3]
	s_add_u32 s20, s20, 8
	s_addc_u32 s21, s21, 0
	v_or_b32_e32 v20, v8, v20
	s_cmp_lg_u32 s15, s22
	v_or_b32_e32 v21, v9, v21
	s_cbranch_scc1 .LBB7_1049
	s_branch .LBB7_1052
.LBB7_1050:                             ;   in Loop: Header=BB7_1023 Depth=1
                                        ; implicit-def: $vgpr20_vgpr21
                                        ; implicit-def: $sgpr24
	s_branch .LBB7_1053
.LBB7_1051:                             ;   in Loop: Header=BB7_1023 Depth=1
	v_mov_b32_e32 v20, 0
	v_mov_b32_e32 v21, 0
.LBB7_1052:                             ;   in Loop: Header=BB7_1023 Depth=1
	s_mov_b32 s24, 0
	s_cbranch_execnz .LBB7_1054
.LBB7_1053:                             ;   in Loop: Header=BB7_1023 Depth=1
	global_load_dwordx2 v[20:21], v3, s[4:5]
	s_add_i32 s24, s15, -8
	s_add_u32 s4, s4, 8
	s_addc_u32 s5, s5, 0
.LBB7_1054:                             ;   in Loop: Header=BB7_1023 Depth=1
	s_cmp_gt_u32 s24, 7
	s_cbranch_scc1 .LBB7_1058
; %bb.1055:                             ;   in Loop: Header=BB7_1023 Depth=1
	s_cmp_eq_u32 s24, 0
	s_cbranch_scc1 .LBB7_1059
; %bb.1056:                             ;   in Loop: Header=BB7_1023 Depth=1
	v_mov_b32_e32 v22, 0
	s_mov_b64 s[20:21], 0
	v_mov_b32_e32 v23, 0
	s_mov_b64 s[22:23], 0
.LBB7_1057:                             ;   Parent Loop BB7_1023 Depth=1
                                        ; =>  This Inner Loop Header: Depth=2
	s_add_u32 s26, s4, s22
	s_addc_u32 s27, s5, s23
	global_load_ubyte v2, v3, s[26:27]
	s_add_u32 s22, s22, 1
	s_addc_u32 s23, s23, 0
	s_waitcnt vmcnt(0)
	v_and_b32_e32 v2, 0xffff, v2
	v_lshlrev_b64 v[8:9], s20, v[2:3]
	s_add_u32 s20, s20, 8
	s_addc_u32 s21, s21, 0
	v_or_b32_e32 v22, v8, v22
	s_cmp_lg_u32 s24, s22
	v_or_b32_e32 v23, v9, v23
	s_cbranch_scc1 .LBB7_1057
	s_branch .LBB7_1060
.LBB7_1058:                             ;   in Loop: Header=BB7_1023 Depth=1
                                        ; implicit-def: $sgpr15
	s_branch .LBB7_1061
.LBB7_1059:                             ;   in Loop: Header=BB7_1023 Depth=1
	v_mov_b32_e32 v22, 0
	v_mov_b32_e32 v23, 0
.LBB7_1060:                             ;   in Loop: Header=BB7_1023 Depth=1
	s_mov_b32 s15, 0
	s_cbranch_execnz .LBB7_1062
.LBB7_1061:                             ;   in Loop: Header=BB7_1023 Depth=1
	global_load_dwordx2 v[22:23], v3, s[4:5]
	s_add_i32 s15, s24, -8
	s_add_u32 s4, s4, 8
	s_addc_u32 s5, s5, 0
.LBB7_1062:                             ;   in Loop: Header=BB7_1023 Depth=1
	s_cmp_gt_u32 s15, 7
	s_cbranch_scc1 .LBB7_1066
; %bb.1063:                             ;   in Loop: Header=BB7_1023 Depth=1
	s_cmp_eq_u32 s15, 0
	s_cbranch_scc1 .LBB7_1067
; %bb.1064:                             ;   in Loop: Header=BB7_1023 Depth=1
	v_mov_b32_e32 v24, 0
	s_mov_b64 s[20:21], 0
	v_mov_b32_e32 v25, 0
	s_mov_b64 s[22:23], 0
.LBB7_1065:                             ;   Parent Loop BB7_1023 Depth=1
                                        ; =>  This Inner Loop Header: Depth=2
	s_add_u32 s24, s4, s22
	s_addc_u32 s25, s5, s23
	global_load_ubyte v2, v3, s[24:25]
	s_add_u32 s22, s22, 1
	s_addc_u32 s23, s23, 0
	s_waitcnt vmcnt(0)
	v_and_b32_e32 v2, 0xffff, v2
	v_lshlrev_b64 v[8:9], s20, v[2:3]
	s_add_u32 s20, s20, 8
	s_addc_u32 s21, s21, 0
	v_or_b32_e32 v24, v8, v24
	s_cmp_lg_u32 s15, s22
	v_or_b32_e32 v25, v9, v25
	s_cbranch_scc1 .LBB7_1065
	s_branch .LBB7_1068
.LBB7_1066:                             ;   in Loop: Header=BB7_1023 Depth=1
                                        ; implicit-def: $vgpr24_vgpr25
                                        ; implicit-def: $sgpr24
	s_branch .LBB7_1069
.LBB7_1067:                             ;   in Loop: Header=BB7_1023 Depth=1
	v_mov_b32_e32 v24, 0
	v_mov_b32_e32 v25, 0
.LBB7_1068:                             ;   in Loop: Header=BB7_1023 Depth=1
	s_mov_b32 s24, 0
	s_cbranch_execnz .LBB7_1070
.LBB7_1069:                             ;   in Loop: Header=BB7_1023 Depth=1
	global_load_dwordx2 v[24:25], v3, s[4:5]
	s_add_i32 s24, s15, -8
	s_add_u32 s4, s4, 8
	s_addc_u32 s5, s5, 0
.LBB7_1070:                             ;   in Loop: Header=BB7_1023 Depth=1
	s_cmp_gt_u32 s24, 7
	s_cbranch_scc1 .LBB7_1074
; %bb.1071:                             ;   in Loop: Header=BB7_1023 Depth=1
	s_cmp_eq_u32 s24, 0
	s_cbranch_scc1 .LBB7_1075
; %bb.1072:                             ;   in Loop: Header=BB7_1023 Depth=1
	v_mov_b32_e32 v26, 0
	s_mov_b64 s[20:21], 0
	v_mov_b32_e32 v27, 0
	s_mov_b64 s[22:23], s[4:5]
.LBB7_1073:                             ;   Parent Loop BB7_1023 Depth=1
                                        ; =>  This Inner Loop Header: Depth=2
	global_load_ubyte v2, v3, s[22:23]
	s_add_i32 s24, s24, -1
	s_waitcnt vmcnt(0)
	v_and_b32_e32 v2, 0xffff, v2
	v_lshlrev_b64 v[8:9], s20, v[2:3]
	s_add_u32 s20, s20, 8
	s_addc_u32 s21, s21, 0
	s_add_u32 s22, s22, 1
	s_addc_u32 s23, s23, 0
	v_or_b32_e32 v26, v8, v26
	s_cmp_lg_u32 s24, 0
	v_or_b32_e32 v27, v9, v27
	s_cbranch_scc1 .LBB7_1073
	s_branch .LBB7_1076
.LBB7_1074:                             ;   in Loop: Header=BB7_1023 Depth=1
	s_branch .LBB7_1077
.LBB7_1075:                             ;   in Loop: Header=BB7_1023 Depth=1
	v_mov_b32_e32 v26, 0
	v_mov_b32_e32 v27, 0
.LBB7_1076:                             ;   in Loop: Header=BB7_1023 Depth=1
	s_cbranch_execnz .LBB7_1078
.LBB7_1077:                             ;   in Loop: Header=BB7_1023 Depth=1
	global_load_dwordx2 v[26:27], v3, s[4:5]
.LBB7_1078:                             ;   in Loop: Header=BB7_1023 Depth=1
	v_readfirstlane_b32 s4, v44
	s_waitcnt vmcnt(0)
	v_mov_b32_e32 v8, 0
	v_mov_b32_e32 v9, 0
	v_cmp_eq_u32_e64 s[4:5], s4, v44
	s_and_saveexec_b64 s[20:21], s[4:5]
	s_cbranch_execz .LBB7_1084
; %bb.1079:                             ;   in Loop: Header=BB7_1023 Depth=1
	global_load_dwordx2 v[30:31], v3, s[48:49] offset:24 glc
	s_waitcnt vmcnt(0)
	buffer_wbinvl1_vol
	global_load_dwordx2 v[8:9], v3, s[48:49] offset:40
	global_load_dwordx2 v[12:13], v3, s[48:49]
	s_waitcnt vmcnt(1)
	v_and_b32_e32 v2, v8, v30
	v_and_b32_e32 v8, v9, v31
	v_mul_lo_u32 v8, v8, 24
	v_mul_hi_u32 v9, v2, 24
	v_mul_lo_u32 v2, v2, 24
	v_add_u32_e32 v9, v9, v8
	s_waitcnt vmcnt(0)
	v_add_co_u32_e32 v8, vcc, v12, v2
	v_addc_co_u32_e32 v9, vcc, v13, v9, vcc
	global_load_dwordx2 v[28:29], v[8:9], off glc
	s_waitcnt vmcnt(0)
	global_atomic_cmpswap_x2 v[8:9], v3, v[28:31], s[48:49] offset:24 glc
	s_waitcnt vmcnt(0)
	buffer_wbinvl1_vol
	v_cmp_ne_u64_e32 vcc, v[8:9], v[30:31]
	s_and_saveexec_b64 s[22:23], vcc
	s_cbranch_execz .LBB7_1083
; %bb.1080:                             ;   in Loop: Header=BB7_1023 Depth=1
	s_mov_b64 s[24:25], 0
.LBB7_1081:                             ;   Parent Loop BB7_1023 Depth=1
                                        ; =>  This Inner Loop Header: Depth=2
	s_sleep 1
	global_load_dwordx2 v[12:13], v3, s[48:49] offset:40
	global_load_dwordx2 v[28:29], v3, s[48:49]
	v_mov_b32_e32 v31, v9
	v_mov_b32_e32 v30, v8
	s_waitcnt vmcnt(1)
	v_and_b32_e32 v2, v12, v30
	s_waitcnt vmcnt(0)
	v_mad_u64_u32 v[8:9], s[26:27], v2, 24, v[28:29]
	v_and_b32_e32 v12, v13, v31
	v_mov_b32_e32 v2, v9
	v_mad_u64_u32 v[12:13], s[26:27], v12, 24, v[2:3]
	v_mov_b32_e32 v9, v12
	global_load_dwordx2 v[28:29], v[8:9], off glc
	s_waitcnt vmcnt(0)
	global_atomic_cmpswap_x2 v[8:9], v3, v[28:31], s[48:49] offset:24 glc
	s_waitcnt vmcnt(0)
	buffer_wbinvl1_vol
	v_cmp_eq_u64_e32 vcc, v[8:9], v[30:31]
	s_or_b64 s[24:25], vcc, s[24:25]
	s_andn2_b64 exec, exec, s[24:25]
	s_cbranch_execnz .LBB7_1081
; %bb.1082:                             ;   in Loop: Header=BB7_1023 Depth=1
	s_or_b64 exec, exec, s[24:25]
.LBB7_1083:                             ;   in Loop: Header=BB7_1023 Depth=1
	s_or_b64 exec, exec, s[22:23]
.LBB7_1084:                             ;   in Loop: Header=BB7_1023 Depth=1
	s_or_b64 exec, exec, s[20:21]
	global_load_dwordx2 v[12:13], v3, s[48:49] offset:40
	global_load_dwordx4 v[28:31], v3, s[48:49]
	v_readfirstlane_b32 s20, v8
	v_readfirstlane_b32 s21, v9
	s_mov_b64 s[22:23], exec
	s_waitcnt vmcnt(1)
	v_readfirstlane_b32 s24, v12
	v_readfirstlane_b32 s25, v13
	s_and_b64 s[24:25], s[20:21], s[24:25]
	s_mul_i32 s15, s25, 24
	s_mul_hi_u32 s26, s24, 24
	s_mul_i32 s27, s24, 24
	s_add_i32 s15, s26, s15
	v_mov_b32_e32 v2, s15
	s_waitcnt vmcnt(0)
	v_add_co_u32_e32 v32, vcc, s27, v28
	v_addc_co_u32_e32 v33, vcc, v29, v2, vcc
	s_and_saveexec_b64 s[26:27], s[4:5]
	s_cbranch_execz .LBB7_1086
; %bb.1085:                             ;   in Loop: Header=BB7_1023 Depth=1
	v_mov_b32_e32 v8, s22
	v_mov_b32_e32 v9, s23
	global_store_dwordx4 v[32:33], v[8:11], off offset:8
.LBB7_1086:                             ;   in Loop: Header=BB7_1023 Depth=1
	s_or_b64 exec, exec, s[26:27]
	s_lshl_b64 s[22:23], s[24:25], 12
	v_mov_b32_e32 v2, s23
	v_add_co_u32_e32 v30, vcc, s22, v30
	v_addc_co_u32_e32 v31, vcc, v31, v2, vcc
	v_cmp_gt_u64_e64 vcc, s[16:17], 56
	v_or_b32_e32 v2, 0, v7
	v_or_b32_e32 v8, v6, v34
	s_lshl_b32 s15, s18, 2
	v_cndmask_b32_e32 v13, v2, v7, vcc
	v_cndmask_b32_e32 v2, v8, v6, vcc
	s_add_i32 s15, s15, 28
	s_and_b32 s15, s15, 0x1e0
	v_and_b32_e32 v2, 0xffffff1f, v2
	v_or_b32_e32 v12, s15, v2
	v_readfirstlane_b32 s22, v30
	v_readfirstlane_b32 s23, v31
	s_nop 4
	global_store_dwordx4 v40, v[12:15], s[22:23]
	global_store_dwordx4 v40, v[16:19], s[22:23] offset:16
	global_store_dwordx4 v40, v[20:23], s[22:23] offset:32
	;; [unrolled: 1-line block ×3, first 2 shown]
	s_and_saveexec_b64 s[22:23], s[4:5]
	s_cbranch_execz .LBB7_1094
; %bb.1087:                             ;   in Loop: Header=BB7_1023 Depth=1
	global_load_dwordx2 v[16:17], v3, s[48:49] offset:32 glc
	global_load_dwordx2 v[6:7], v3, s[48:49] offset:40
	v_mov_b32_e32 v14, s20
	v_mov_b32_e32 v15, s21
	s_waitcnt vmcnt(0)
	v_readfirstlane_b32 s24, v6
	v_readfirstlane_b32 s25, v7
	s_and_b64 s[24:25], s[24:25], s[20:21]
	s_mul_i32 s15, s25, 24
	s_mul_hi_u32 s25, s24, 24
	s_mul_i32 s24, s24, 24
	s_add_i32 s15, s25, s15
	v_mov_b32_e32 v2, s15
	v_add_co_u32_e32 v12, vcc, s24, v28
	v_addc_co_u32_e32 v13, vcc, v29, v2, vcc
	global_store_dwordx2 v[12:13], v[16:17], off
	s_waitcnt vmcnt(0)
	global_atomic_cmpswap_x2 v[8:9], v3, v[14:17], s[48:49] offset:32 glc
	s_waitcnt vmcnt(0)
	v_cmp_ne_u64_e32 vcc, v[8:9], v[16:17]
	s_and_saveexec_b64 s[24:25], vcc
	s_cbranch_execz .LBB7_1090
; %bb.1088:                             ;   in Loop: Header=BB7_1023 Depth=1
	s_mov_b64 s[26:27], 0
.LBB7_1089:                             ;   Parent Loop BB7_1023 Depth=1
                                        ; =>  This Inner Loop Header: Depth=2
	s_sleep 1
	global_store_dwordx2 v[12:13], v[8:9], off
	v_mov_b32_e32 v6, s20
	v_mov_b32_e32 v7, s21
	s_waitcnt vmcnt(0)
	global_atomic_cmpswap_x2 v[6:7], v3, v[6:9], s[48:49] offset:32 glc
	s_waitcnt vmcnt(0)
	v_cmp_eq_u64_e32 vcc, v[6:7], v[8:9]
	v_mov_b32_e32 v9, v7
	s_or_b64 s[26:27], vcc, s[26:27]
	v_mov_b32_e32 v8, v6
	s_andn2_b64 exec, exec, s[26:27]
	s_cbranch_execnz .LBB7_1089
.LBB7_1090:                             ;   in Loop: Header=BB7_1023 Depth=1
	s_or_b64 exec, exec, s[24:25]
	global_load_dwordx2 v[6:7], v3, s[48:49] offset:16
	s_mov_b64 s[26:27], exec
	v_mbcnt_lo_u32_b32 v2, s26, 0
	v_mbcnt_hi_u32_b32 v2, s27, v2
	v_cmp_eq_u32_e32 vcc, 0, v2
	s_and_saveexec_b64 s[24:25], vcc
	s_cbranch_execz .LBB7_1092
; %bb.1091:                             ;   in Loop: Header=BB7_1023 Depth=1
	s_bcnt1_i32_b64 s15, s[26:27]
	v_mov_b32_e32 v2, s15
	s_waitcnt vmcnt(0)
	global_atomic_add_x2 v[6:7], v[2:3], off offset:8
.LBB7_1092:                             ;   in Loop: Header=BB7_1023 Depth=1
	s_or_b64 exec, exec, s[24:25]
	s_waitcnt vmcnt(0)
	global_load_dwordx2 v[8:9], v[6:7], off offset:16
	s_waitcnt vmcnt(0)
	v_cmp_eq_u64_e32 vcc, 0, v[8:9]
	s_cbranch_vccnz .LBB7_1094
; %bb.1093:                             ;   in Loop: Header=BB7_1023 Depth=1
	global_load_dword v2, v[6:7], off offset:24
	s_waitcnt vmcnt(0)
	global_store_dwordx2 v[8:9], v[2:3], off
	v_and_b32_e32 v2, 0xffffff, v2
	v_readfirstlane_b32 m0, v2
	s_sendmsg sendmsg(MSG_INTERRUPT)
.LBB7_1094:                             ;   in Loop: Header=BB7_1023 Depth=1
	s_or_b64 exec, exec, s[22:23]
	v_add_co_u32_e32 v6, vcc, v30, v40
	v_addc_co_u32_e32 v7, vcc, 0, v31, vcc
	s_branch .LBB7_1098
.LBB7_1095:                             ;   in Loop: Header=BB7_1098 Depth=2
	s_or_b64 exec, exec, s[22:23]
	v_readfirstlane_b32 s15, v2
	s_cmp_eq_u32 s15, 0
	s_cbranch_scc1 .LBB7_1097
; %bb.1096:                             ;   in Loop: Header=BB7_1098 Depth=2
	s_sleep 1
	s_cbranch_execnz .LBB7_1098
	s_branch .LBB7_1100
.LBB7_1097:                             ;   in Loop: Header=BB7_1023 Depth=1
	s_branch .LBB7_1100
.LBB7_1098:                             ;   Parent Loop BB7_1023 Depth=1
                                        ; =>  This Inner Loop Header: Depth=2
	v_mov_b32_e32 v2, 1
	s_and_saveexec_b64 s[22:23], s[4:5]
	s_cbranch_execz .LBB7_1095
; %bb.1099:                             ;   in Loop: Header=BB7_1098 Depth=2
	global_load_dword v2, v[32:33], off offset:20 glc
	s_waitcnt vmcnt(0)
	buffer_wbinvl1_vol
	v_and_b32_e32 v2, 1, v2
	s_branch .LBB7_1095
.LBB7_1100:                             ;   in Loop: Header=BB7_1023 Depth=1
	global_load_dwordx4 v[6:9], v[6:7], off
	s_and_saveexec_b64 s[22:23], s[4:5]
	s_cbranch_execz .LBB7_1022
; %bb.1101:                             ;   in Loop: Header=BB7_1023 Depth=1
	global_load_dwordx2 v[8:9], v3, s[48:49] offset:40
	global_load_dwordx2 v[16:17], v3, s[48:49] offset:24 glc
	global_load_dwordx2 v[18:19], v3, s[48:49]
	v_mov_b32_e32 v2, s21
	s_waitcnt vmcnt(2)
	v_add_co_u32_e32 v14, vcc, 1, v8
	v_addc_co_u32_e32 v15, vcc, 0, v9, vcc
	v_add_co_u32_e32 v12, vcc, s20, v14
	v_addc_co_u32_e32 v13, vcc, v15, v2, vcc
	v_cmp_eq_u64_e32 vcc, 0, v[12:13]
	v_cndmask_b32_e32 v13, v13, v15, vcc
	v_cndmask_b32_e32 v12, v12, v14, vcc
	v_and_b32_e32 v2, v13, v9
	v_and_b32_e32 v8, v12, v8
	v_mul_lo_u32 v2, v2, 24
	v_mul_hi_u32 v9, v8, 24
	v_mul_lo_u32 v8, v8, 24
	s_waitcnt vmcnt(1)
	v_mov_b32_e32 v14, v16
	v_mov_b32_e32 v15, v17
	v_add_u32_e32 v2, v9, v2
	s_waitcnt vmcnt(0)
	v_add_co_u32_e32 v8, vcc, v18, v8
	v_addc_co_u32_e32 v9, vcc, v19, v2, vcc
	global_store_dwordx2 v[8:9], v[16:17], off
	s_waitcnt vmcnt(0)
	global_atomic_cmpswap_x2 v[14:15], v3, v[12:15], s[48:49] offset:24 glc
	s_waitcnt vmcnt(0)
	v_cmp_ne_u64_e32 vcc, v[14:15], v[16:17]
	s_and_b64 exec, exec, vcc
	s_cbranch_execz .LBB7_1022
; %bb.1102:                             ;   in Loop: Header=BB7_1023 Depth=1
	s_mov_b64 s[4:5], 0
.LBB7_1103:                             ;   Parent Loop BB7_1023 Depth=1
                                        ; =>  This Inner Loop Header: Depth=2
	s_sleep 1
	global_store_dwordx2 v[8:9], v[14:15], off
	s_waitcnt vmcnt(0)
	global_atomic_cmpswap_x2 v[16:17], v3, v[12:15], s[48:49] offset:24 glc
	s_waitcnt vmcnt(0)
	v_cmp_eq_u64_e32 vcc, v[16:17], v[14:15]
	v_mov_b32_e32 v14, v16
	s_or_b64 s[4:5], vcc, s[4:5]
	v_mov_b32_e32 v15, v17
	s_andn2_b64 exec, exec, s[4:5]
	s_cbranch_execnz .LBB7_1103
	s_branch .LBB7_1022
.LBB7_1104:
	s_branch .LBB7_1132
.LBB7_1105:
                                        ; implicit-def: $vgpr6_vgpr7
	s_cbranch_execz .LBB7_1132
; %bb.1106:
	v_readfirstlane_b32 s4, v44
	v_mov_b32_e32 v10, 0
	v_mov_b32_e32 v11, 0
	v_cmp_eq_u32_e64 s[4:5], s4, v44
	s_and_saveexec_b64 s[10:11], s[4:5]
	s_cbranch_execz .LBB7_1112
; %bb.1107:
	v_mov_b32_e32 v2, 0
	global_load_dwordx2 v[8:9], v2, s[48:49] offset:24 glc
	s_waitcnt vmcnt(0)
	buffer_wbinvl1_vol
	global_load_dwordx2 v[6:7], v2, s[48:49] offset:40
	global_load_dwordx2 v[10:11], v2, s[48:49]
	s_waitcnt vmcnt(1)
	v_and_b32_e32 v3, v6, v8
	v_and_b32_e32 v6, v7, v9
	v_mul_lo_u32 v6, v6, 24
	v_mul_hi_u32 v7, v3, 24
	v_mul_lo_u32 v3, v3, 24
	v_add_u32_e32 v7, v7, v6
	s_waitcnt vmcnt(0)
	v_add_co_u32_e32 v6, vcc, v10, v3
	v_addc_co_u32_e32 v7, vcc, v11, v7, vcc
	global_load_dwordx2 v[6:7], v[6:7], off glc
	s_waitcnt vmcnt(0)
	global_atomic_cmpswap_x2 v[10:11], v2, v[6:9], s[48:49] offset:24 glc
	s_waitcnt vmcnt(0)
	buffer_wbinvl1_vol
	v_cmp_ne_u64_e32 vcc, v[10:11], v[8:9]
	s_and_saveexec_b64 s[16:17], vcc
	s_cbranch_execz .LBB7_1111
; %bb.1108:
	s_mov_b64 s[18:19], 0
.LBB7_1109:                             ; =>This Inner Loop Header: Depth=1
	s_sleep 1
	global_load_dwordx2 v[6:7], v2, s[48:49] offset:40
	global_load_dwordx2 v[12:13], v2, s[48:49]
	v_mov_b32_e32 v8, v10
	v_mov_b32_e32 v9, v11
	s_waitcnt vmcnt(1)
	v_and_b32_e32 v3, v6, v8
	s_waitcnt vmcnt(0)
	v_mad_u64_u32 v[10:11], s[20:21], v3, 24, v[12:13]
	v_and_b32_e32 v6, v7, v9
	v_mov_b32_e32 v3, v11
	v_mad_u64_u32 v[6:7], s[20:21], v6, 24, v[3:4]
	v_mov_b32_e32 v11, v6
	global_load_dwordx2 v[6:7], v[10:11], off glc
	s_waitcnt vmcnt(0)
	global_atomic_cmpswap_x2 v[10:11], v2, v[6:9], s[48:49] offset:24 glc
	s_waitcnt vmcnt(0)
	buffer_wbinvl1_vol
	v_cmp_eq_u64_e32 vcc, v[10:11], v[8:9]
	s_or_b64 s[18:19], vcc, s[18:19]
	s_andn2_b64 exec, exec, s[18:19]
	s_cbranch_execnz .LBB7_1109
; %bb.1110:
	s_or_b64 exec, exec, s[18:19]
.LBB7_1111:
	s_or_b64 exec, exec, s[16:17]
.LBB7_1112:
	s_or_b64 exec, exec, s[10:11]
	v_mov_b32_e32 v2, 0
	global_load_dwordx2 v[12:13], v2, s[48:49] offset:40
	global_load_dwordx4 v[6:9], v2, s[48:49]
	v_readfirstlane_b32 s10, v10
	v_readfirstlane_b32 s11, v11
	s_mov_b64 s[16:17], exec
	s_waitcnt vmcnt(1)
	v_readfirstlane_b32 s18, v12
	v_readfirstlane_b32 s19, v13
	s_and_b64 s[18:19], s[10:11], s[18:19]
	s_mul_i32 s15, s19, 24
	s_mul_hi_u32 s20, s18, 24
	s_mul_i32 s21, s18, 24
	s_add_i32 s15, s20, s15
	v_mov_b32_e32 v3, s15
	s_waitcnt vmcnt(0)
	v_add_co_u32_e32 v10, vcc, s21, v6
	v_addc_co_u32_e32 v11, vcc, v7, v3, vcc
	s_and_saveexec_b64 s[20:21], s[4:5]
	s_cbranch_execz .LBB7_1114
; %bb.1113:
	v_mov_b32_e32 v12, s16
	v_mov_b32_e32 v13, s17
	;; [unrolled: 1-line block ×4, first 2 shown]
	global_store_dwordx4 v[10:11], v[12:15], off offset:8
.LBB7_1114:
	s_or_b64 exec, exec, s[20:21]
	s_lshl_b64 s[16:17], s[18:19], 12
	v_mov_b32_e32 v3, s17
	v_add_co_u32_e32 v12, vcc, s16, v8
	v_addc_co_u32_e32 v13, vcc, v9, v3, vcc
	s_movk_i32 s15, 0xff1f
	v_and_or_b32 v0, v0, s15, 32
	s_mov_b32 s16, 0
	v_mov_b32_e32 v3, v2
	v_readfirstlane_b32 s20, v12
	v_readfirstlane_b32 s21, v13
	v_add_co_u32_e32 v8, vcc, v12, v40
	s_mov_b32 s17, s16
	s_mov_b32 s18, s16
	;; [unrolled: 1-line block ×3, first 2 shown]
	s_nop 0
	global_store_dwordx4 v40, v[0:3], s[20:21]
	v_addc_co_u32_e32 v9, vcc, 0, v13, vcc
	v_mov_b32_e32 v0, s16
	v_mov_b32_e32 v1, s17
	;; [unrolled: 1-line block ×4, first 2 shown]
	global_store_dwordx4 v40, v[0:3], s[20:21] offset:16
	global_store_dwordx4 v40, v[0:3], s[20:21] offset:32
	global_store_dwordx4 v40, v[0:3], s[20:21] offset:48
	s_and_saveexec_b64 s[16:17], s[4:5]
	s_cbranch_execz .LBB7_1122
; %bb.1115:
	v_mov_b32_e32 v12, 0
	global_load_dwordx2 v[15:16], v12, s[48:49] offset:32 glc
	global_load_dwordx2 v[0:1], v12, s[48:49] offset:40
	v_mov_b32_e32 v13, s10
	v_mov_b32_e32 v14, s11
	s_waitcnt vmcnt(0)
	v_readfirstlane_b32 s18, v0
	v_readfirstlane_b32 s19, v1
	s_and_b64 s[18:19], s[18:19], s[10:11]
	s_mul_i32 s15, s19, 24
	s_mul_hi_u32 s19, s18, 24
	s_mul_i32 s18, s18, 24
	s_add_i32 s15, s19, s15
	v_mov_b32_e32 v0, s15
	v_add_co_u32_e32 v6, vcc, s18, v6
	v_addc_co_u32_e32 v7, vcc, v7, v0, vcc
	global_store_dwordx2 v[6:7], v[15:16], off
	s_waitcnt vmcnt(0)
	global_atomic_cmpswap_x2 v[2:3], v12, v[13:16], s[48:49] offset:32 glc
	s_waitcnt vmcnt(0)
	v_cmp_ne_u64_e32 vcc, v[2:3], v[15:16]
	s_and_saveexec_b64 s[18:19], vcc
	s_cbranch_execz .LBB7_1118
; %bb.1116:
	s_mov_b64 s[20:21], 0
.LBB7_1117:                             ; =>This Inner Loop Header: Depth=1
	s_sleep 1
	global_store_dwordx2 v[6:7], v[2:3], off
	v_mov_b32_e32 v0, s10
	v_mov_b32_e32 v1, s11
	s_waitcnt vmcnt(0)
	global_atomic_cmpswap_x2 v[0:1], v12, v[0:3], s[48:49] offset:32 glc
	s_waitcnt vmcnt(0)
	v_cmp_eq_u64_e32 vcc, v[0:1], v[2:3]
	v_mov_b32_e32 v3, v1
	s_or_b64 s[20:21], vcc, s[20:21]
	v_mov_b32_e32 v2, v0
	s_andn2_b64 exec, exec, s[20:21]
	s_cbranch_execnz .LBB7_1117
.LBB7_1118:
	s_or_b64 exec, exec, s[18:19]
	v_mov_b32_e32 v3, 0
	global_load_dwordx2 v[0:1], v3, s[48:49] offset:16
	s_mov_b64 s[18:19], exec
	v_mbcnt_lo_u32_b32 v2, s18, 0
	v_mbcnt_hi_u32_b32 v2, s19, v2
	v_cmp_eq_u32_e32 vcc, 0, v2
	s_and_saveexec_b64 s[20:21], vcc
	s_cbranch_execz .LBB7_1120
; %bb.1119:
	s_bcnt1_i32_b64 s15, s[18:19]
	v_mov_b32_e32 v2, s15
	s_waitcnt vmcnt(0)
	global_atomic_add_x2 v[0:1], v[2:3], off offset:8
.LBB7_1120:
	s_or_b64 exec, exec, s[20:21]
	s_waitcnt vmcnt(0)
	global_load_dwordx2 v[2:3], v[0:1], off offset:16
	s_waitcnt vmcnt(0)
	v_cmp_eq_u64_e32 vcc, 0, v[2:3]
	s_cbranch_vccnz .LBB7_1122
; %bb.1121:
	global_load_dword v0, v[0:1], off offset:24
	v_mov_b32_e32 v1, 0
	s_waitcnt vmcnt(0)
	global_store_dwordx2 v[2:3], v[0:1], off
	v_and_b32_e32 v0, 0xffffff, v0
	v_readfirstlane_b32 m0, v0
	s_sendmsg sendmsg(MSG_INTERRUPT)
.LBB7_1122:
	s_or_b64 exec, exec, s[16:17]
	s_branch .LBB7_1126
.LBB7_1123:                             ;   in Loop: Header=BB7_1126 Depth=1
	s_or_b64 exec, exec, s[16:17]
	v_readfirstlane_b32 s15, v0
	s_cmp_eq_u32 s15, 0
	s_cbranch_scc1 .LBB7_1125
; %bb.1124:                             ;   in Loop: Header=BB7_1126 Depth=1
	s_sleep 1
	s_cbranch_execnz .LBB7_1126
	s_branch .LBB7_1128
.LBB7_1125:
	s_branch .LBB7_1128
.LBB7_1126:                             ; =>This Inner Loop Header: Depth=1
	v_mov_b32_e32 v0, 1
	s_and_saveexec_b64 s[16:17], s[4:5]
	s_cbranch_execz .LBB7_1123
; %bb.1127:                             ;   in Loop: Header=BB7_1126 Depth=1
	global_load_dword v0, v[10:11], off offset:20 glc
	s_waitcnt vmcnt(0)
	buffer_wbinvl1_vol
	v_and_b32_e32 v0, 1, v0
	s_branch .LBB7_1123
.LBB7_1128:
	global_load_dwordx2 v[6:7], v[8:9], off
	s_and_saveexec_b64 s[16:17], s[4:5]
	s_cbranch_execz .LBB7_1131
; %bb.1129:
	v_mov_b32_e32 v10, 0
	global_load_dwordx2 v[2:3], v10, s[48:49] offset:40
	global_load_dwordx2 v[11:12], v10, s[48:49] offset:24 glc
	global_load_dwordx2 v[8:9], v10, s[48:49]
	v_mov_b32_e32 v1, s11
	s_mov_b64 s[4:5], 0
	s_waitcnt vmcnt(2)
	v_add_co_u32_e32 v13, vcc, 1, v2
	v_addc_co_u32_e32 v14, vcc, 0, v3, vcc
	v_add_co_u32_e32 v0, vcc, s10, v13
	v_addc_co_u32_e32 v1, vcc, v14, v1, vcc
	v_cmp_eq_u64_e32 vcc, 0, v[0:1]
	v_cndmask_b32_e32 v1, v1, v14, vcc
	v_cndmask_b32_e32 v0, v0, v13, vcc
	v_and_b32_e32 v3, v1, v3
	v_and_b32_e32 v2, v0, v2
	v_mul_lo_u32 v3, v3, 24
	v_mul_hi_u32 v13, v2, 24
	v_mul_lo_u32 v14, v2, 24
	s_waitcnt vmcnt(1)
	v_mov_b32_e32 v2, v11
	v_add_u32_e32 v3, v13, v3
	s_waitcnt vmcnt(0)
	v_add_co_u32_e32 v8, vcc, v8, v14
	v_addc_co_u32_e32 v9, vcc, v9, v3, vcc
	global_store_dwordx2 v[8:9], v[11:12], off
	v_mov_b32_e32 v3, v12
	s_waitcnt vmcnt(0)
	global_atomic_cmpswap_x2 v[2:3], v10, v[0:3], s[48:49] offset:24 glc
	s_waitcnt vmcnt(0)
	v_cmp_ne_u64_e32 vcc, v[2:3], v[11:12]
	s_and_b64 exec, exec, vcc
	s_cbranch_execz .LBB7_1131
.LBB7_1130:                             ; =>This Inner Loop Header: Depth=1
	s_sleep 1
	global_store_dwordx2 v[8:9], v[2:3], off
	s_waitcnt vmcnt(0)
	global_atomic_cmpswap_x2 v[11:12], v10, v[0:3], s[48:49] offset:24 glc
	s_waitcnt vmcnt(0)
	v_cmp_eq_u64_e32 vcc, v[11:12], v[2:3]
	v_mov_b32_e32 v2, v11
	s_or_b64 s[4:5], vcc, s[4:5]
	v_mov_b32_e32 v3, v12
	s_andn2_b64 exec, exec, s[4:5]
	s_cbranch_execnz .LBB7_1130
.LBB7_1131:
	s_or_b64 exec, exec, s[16:17]
.LBB7_1132:
	v_readfirstlane_b32 s4, v44
	v_mov_b32_e32 v10, 0
	v_mov_b32_e32 v11, 0
	v_cmp_eq_u32_e64 s[4:5], s4, v44
	s_and_saveexec_b64 s[10:11], s[4:5]
	s_cbranch_execz .LBB7_1138
; %bb.1133:
	s_waitcnt vmcnt(0)
	v_mov_b32_e32 v0, 0
	global_load_dwordx2 v[12:13], v0, s[48:49] offset:24 glc
	s_waitcnt vmcnt(0)
	buffer_wbinvl1_vol
	global_load_dwordx2 v[1:2], v0, s[48:49] offset:40
	global_load_dwordx2 v[8:9], v0, s[48:49]
	s_waitcnt vmcnt(1)
	v_and_b32_e32 v1, v1, v12
	v_and_b32_e32 v2, v2, v13
	v_mul_lo_u32 v2, v2, 24
	v_mul_hi_u32 v3, v1, 24
	v_mul_lo_u32 v1, v1, 24
	v_add_u32_e32 v2, v3, v2
	s_waitcnt vmcnt(0)
	v_add_co_u32_e32 v1, vcc, v8, v1
	v_addc_co_u32_e32 v2, vcc, v9, v2, vcc
	global_load_dwordx2 v[10:11], v[1:2], off glc
	s_waitcnt vmcnt(0)
	global_atomic_cmpswap_x2 v[10:11], v0, v[10:13], s[48:49] offset:24 glc
	s_waitcnt vmcnt(0)
	buffer_wbinvl1_vol
	v_cmp_ne_u64_e32 vcc, v[10:11], v[12:13]
	s_and_saveexec_b64 s[16:17], vcc
	s_cbranch_execz .LBB7_1137
; %bb.1134:
	s_mov_b64 s[18:19], 0
.LBB7_1135:                             ; =>This Inner Loop Header: Depth=1
	s_sleep 1
	global_load_dwordx2 v[1:2], v0, s[48:49] offset:40
	global_load_dwordx2 v[8:9], v0, s[48:49]
	v_mov_b32_e32 v13, v11
	v_mov_b32_e32 v12, v10
	s_waitcnt vmcnt(1)
	v_and_b32_e32 v1, v1, v12
	s_waitcnt vmcnt(0)
	v_mad_u64_u32 v[8:9], s[20:21], v1, 24, v[8:9]
	v_and_b32_e32 v2, v2, v13
	v_mov_b32_e32 v1, v9
	v_mad_u64_u32 v[1:2], s[20:21], v2, 24, v[1:2]
	v_mov_b32_e32 v9, v1
	global_load_dwordx2 v[10:11], v[8:9], off glc
	s_waitcnt vmcnt(0)
	global_atomic_cmpswap_x2 v[10:11], v0, v[10:13], s[48:49] offset:24 glc
	s_waitcnt vmcnt(0)
	buffer_wbinvl1_vol
	v_cmp_eq_u64_e32 vcc, v[10:11], v[12:13]
	s_or_b64 s[18:19], vcc, s[18:19]
	s_andn2_b64 exec, exec, s[18:19]
	s_cbranch_execnz .LBB7_1135
; %bb.1136:
	s_or_b64 exec, exec, s[18:19]
.LBB7_1137:
	s_or_b64 exec, exec, s[16:17]
.LBB7_1138:
	s_or_b64 exec, exec, s[10:11]
	s_waitcnt vmcnt(0)
	v_mov_b32_e32 v9, 0
	global_load_dwordx2 v[12:13], v9, s[48:49] offset:40
	global_load_dwordx4 v[0:3], v9, s[48:49]
	v_readfirstlane_b32 s10, v10
	v_readfirstlane_b32 s11, v11
	s_mov_b64 s[16:17], exec
	s_waitcnt vmcnt(1)
	v_readfirstlane_b32 s18, v12
	v_readfirstlane_b32 s19, v13
	s_and_b64 s[18:19], s[10:11], s[18:19]
	s_mul_i32 s15, s19, 24
	s_mul_hi_u32 s20, s18, 24
	s_mul_i32 s21, s18, 24
	s_add_i32 s15, s20, s15
	v_mov_b32_e32 v8, s15
	s_waitcnt vmcnt(0)
	v_add_co_u32_e32 v10, vcc, s21, v0
	v_addc_co_u32_e32 v11, vcc, v1, v8, vcc
	s_and_saveexec_b64 s[20:21], s[4:5]
	s_cbranch_execz .LBB7_1140
; %bb.1139:
	v_mov_b32_e32 v12, s16
	v_mov_b32_e32 v13, s17
	;; [unrolled: 1-line block ×4, first 2 shown]
	global_store_dwordx4 v[10:11], v[12:15], off offset:8
.LBB7_1140:
	s_or_b64 exec, exec, s[20:21]
	s_lshl_b64 s[16:17], s[18:19], 12
	v_mov_b32_e32 v8, s17
	v_add_co_u32_e32 v2, vcc, s16, v2
	v_addc_co_u32_e32 v3, vcc, v3, v8, vcc
	s_movk_i32 s15, 0xff1d
	v_and_or_b32 v6, v6, s15, 34
	s_mov_b32 s16, 0
	v_mov_b32_e32 v8, 58
	v_readfirstlane_b32 s20, v2
	v_readfirstlane_b32 s21, v3
	s_mov_b32 s17, s16
	s_mov_b32 s18, s16
	;; [unrolled: 1-line block ×3, first 2 shown]
	s_nop 1
	global_store_dwordx4 v40, v[6:9], s[20:21]
	s_nop 0
	v_mov_b32_e32 v6, s16
	v_mov_b32_e32 v7, s17
	;; [unrolled: 1-line block ×4, first 2 shown]
	global_store_dwordx4 v40, v[6:9], s[20:21] offset:16
	global_store_dwordx4 v40, v[6:9], s[20:21] offset:32
	;; [unrolled: 1-line block ×3, first 2 shown]
	s_and_saveexec_b64 s[16:17], s[4:5]
	s_cbranch_execz .LBB7_1148
; %bb.1141:
	v_mov_b32_e32 v8, 0
	global_load_dwordx2 v[14:15], v8, s[48:49] offset:32 glc
	global_load_dwordx2 v[2:3], v8, s[48:49] offset:40
	v_mov_b32_e32 v12, s10
	v_mov_b32_e32 v13, s11
	s_waitcnt vmcnt(0)
	v_readfirstlane_b32 s18, v2
	v_readfirstlane_b32 s19, v3
	s_and_b64 s[18:19], s[18:19], s[10:11]
	s_mul_i32 s15, s19, 24
	s_mul_hi_u32 s19, s18, 24
	s_mul_i32 s18, s18, 24
	s_add_i32 s15, s19, s15
	v_mov_b32_e32 v2, s15
	v_add_co_u32_e32 v6, vcc, s18, v0
	v_addc_co_u32_e32 v7, vcc, v1, v2, vcc
	global_store_dwordx2 v[6:7], v[14:15], off
	s_waitcnt vmcnt(0)
	global_atomic_cmpswap_x2 v[2:3], v8, v[12:15], s[48:49] offset:32 glc
	s_waitcnt vmcnt(0)
	v_cmp_ne_u64_e32 vcc, v[2:3], v[14:15]
	s_and_saveexec_b64 s[18:19], vcc
	s_cbranch_execz .LBB7_1144
; %bb.1142:
	s_mov_b64 s[20:21], 0
.LBB7_1143:                             ; =>This Inner Loop Header: Depth=1
	s_sleep 1
	global_store_dwordx2 v[6:7], v[2:3], off
	v_mov_b32_e32 v0, s10
	v_mov_b32_e32 v1, s11
	s_waitcnt vmcnt(0)
	global_atomic_cmpswap_x2 v[0:1], v8, v[0:3], s[48:49] offset:32 glc
	s_waitcnt vmcnt(0)
	v_cmp_eq_u64_e32 vcc, v[0:1], v[2:3]
	v_mov_b32_e32 v3, v1
	s_or_b64 s[20:21], vcc, s[20:21]
	v_mov_b32_e32 v2, v0
	s_andn2_b64 exec, exec, s[20:21]
	s_cbranch_execnz .LBB7_1143
.LBB7_1144:
	s_or_b64 exec, exec, s[18:19]
	v_mov_b32_e32 v3, 0
	global_load_dwordx2 v[0:1], v3, s[48:49] offset:16
	s_mov_b64 s[18:19], exec
	v_mbcnt_lo_u32_b32 v2, s18, 0
	v_mbcnt_hi_u32_b32 v2, s19, v2
	v_cmp_eq_u32_e32 vcc, 0, v2
	s_and_saveexec_b64 s[20:21], vcc
	s_cbranch_execz .LBB7_1146
; %bb.1145:
	s_bcnt1_i32_b64 s15, s[18:19]
	v_mov_b32_e32 v2, s15
	s_waitcnt vmcnt(0)
	global_atomic_add_x2 v[0:1], v[2:3], off offset:8
.LBB7_1146:
	s_or_b64 exec, exec, s[20:21]
	s_waitcnt vmcnt(0)
	global_load_dwordx2 v[2:3], v[0:1], off offset:16
	s_waitcnt vmcnt(0)
	v_cmp_eq_u64_e32 vcc, 0, v[2:3]
	s_cbranch_vccnz .LBB7_1148
; %bb.1147:
	global_load_dword v0, v[0:1], off offset:24
	v_mov_b32_e32 v1, 0
	s_waitcnt vmcnt(0)
	global_store_dwordx2 v[2:3], v[0:1], off
	v_and_b32_e32 v0, 0xffffff, v0
	v_readfirstlane_b32 m0, v0
	s_sendmsg sendmsg(MSG_INTERRUPT)
.LBB7_1148:
	s_or_b64 exec, exec, s[16:17]
	s_branch .LBB7_1152
.LBB7_1149:                             ;   in Loop: Header=BB7_1152 Depth=1
	s_or_b64 exec, exec, s[16:17]
	v_readfirstlane_b32 s15, v0
	s_cmp_eq_u32 s15, 0
	s_cbranch_scc1 .LBB7_1151
; %bb.1150:                             ;   in Loop: Header=BB7_1152 Depth=1
	s_sleep 1
	s_cbranch_execnz .LBB7_1152
	s_branch .LBB7_1154
.LBB7_1151:
	s_branch .LBB7_1154
.LBB7_1152:                             ; =>This Inner Loop Header: Depth=1
	v_mov_b32_e32 v0, 1
	s_and_saveexec_b64 s[16:17], s[4:5]
	s_cbranch_execz .LBB7_1149
; %bb.1153:                             ;   in Loop: Header=BB7_1152 Depth=1
	global_load_dword v0, v[10:11], off offset:20 glc
	s_waitcnt vmcnt(0)
	buffer_wbinvl1_vol
	v_and_b32_e32 v0, 1, v0
	s_branch .LBB7_1149
.LBB7_1154:
	s_and_saveexec_b64 s[16:17], s[4:5]
	s_cbranch_execz .LBB7_1157
; %bb.1155:
	v_mov_b32_e32 v8, 0
	global_load_dwordx2 v[2:3], v8, s[48:49] offset:40
	global_load_dwordx2 v[9:10], v8, s[48:49] offset:24 glc
	global_load_dwordx2 v[6:7], v8, s[48:49]
	v_mov_b32_e32 v1, s11
	s_mov_b64 s[4:5], 0
	s_waitcnt vmcnt(2)
	v_add_co_u32_e32 v11, vcc, 1, v2
	v_addc_co_u32_e32 v12, vcc, 0, v3, vcc
	v_add_co_u32_e32 v0, vcc, s10, v11
	v_addc_co_u32_e32 v1, vcc, v12, v1, vcc
	v_cmp_eq_u64_e32 vcc, 0, v[0:1]
	v_cndmask_b32_e32 v1, v1, v12, vcc
	v_cndmask_b32_e32 v0, v0, v11, vcc
	v_and_b32_e32 v3, v1, v3
	v_and_b32_e32 v2, v0, v2
	v_mul_lo_u32 v3, v3, 24
	v_mul_hi_u32 v11, v2, 24
	v_mul_lo_u32 v12, v2, 24
	s_waitcnt vmcnt(1)
	v_mov_b32_e32 v2, v9
	v_add_u32_e32 v3, v11, v3
	s_waitcnt vmcnt(0)
	v_add_co_u32_e32 v6, vcc, v6, v12
	v_addc_co_u32_e32 v7, vcc, v7, v3, vcc
	global_store_dwordx2 v[6:7], v[9:10], off
	v_mov_b32_e32 v3, v10
	s_waitcnt vmcnt(0)
	global_atomic_cmpswap_x2 v[2:3], v8, v[0:3], s[48:49] offset:24 glc
	s_waitcnt vmcnt(0)
	v_cmp_ne_u64_e32 vcc, v[2:3], v[9:10]
	s_and_b64 exec, exec, vcc
	s_cbranch_execz .LBB7_1157
.LBB7_1156:                             ; =>This Inner Loop Header: Depth=1
	s_sleep 1
	global_store_dwordx2 v[6:7], v[2:3], off
	s_waitcnt vmcnt(0)
	global_atomic_cmpswap_x2 v[9:10], v8, v[0:3], s[48:49] offset:24 glc
	s_waitcnt vmcnt(0)
	v_cmp_eq_u64_e32 vcc, v[9:10], v[2:3]
	v_mov_b32_e32 v2, v9
	s_or_b64 s[4:5], vcc, s[4:5]
	v_mov_b32_e32 v3, v10
	s_andn2_b64 exec, exec, s[4:5]
	s_cbranch_execnz .LBB7_1156
.LBB7_1157:
	s_or_b64 exec, exec, s[16:17]
	v_readfirstlane_b32 s4, v44
	v_mov_b32_e32 v8, 0
	v_mov_b32_e32 v9, 0
	v_cmp_eq_u32_e64 s[4:5], s4, v44
	s_and_saveexec_b64 s[10:11], s[4:5]
	s_cbranch_execz .LBB7_1163
; %bb.1158:
	v_mov_b32_e32 v0, 0
	global_load_dwordx2 v[10:11], v0, s[48:49] offset:24 glc
	s_waitcnt vmcnt(0)
	buffer_wbinvl1_vol
	global_load_dwordx2 v[1:2], v0, s[48:49] offset:40
	global_load_dwordx2 v[6:7], v0, s[48:49]
	s_waitcnt vmcnt(1)
	v_and_b32_e32 v1, v1, v10
	v_and_b32_e32 v2, v2, v11
	v_mul_lo_u32 v2, v2, 24
	v_mul_hi_u32 v3, v1, 24
	v_mul_lo_u32 v1, v1, 24
	v_add_u32_e32 v2, v3, v2
	s_waitcnt vmcnt(0)
	v_add_co_u32_e32 v1, vcc, v6, v1
	v_addc_co_u32_e32 v2, vcc, v7, v2, vcc
	global_load_dwordx2 v[8:9], v[1:2], off glc
	s_waitcnt vmcnt(0)
	global_atomic_cmpswap_x2 v[8:9], v0, v[8:11], s[48:49] offset:24 glc
	s_waitcnt vmcnt(0)
	buffer_wbinvl1_vol
	v_cmp_ne_u64_e32 vcc, v[8:9], v[10:11]
	s_and_saveexec_b64 s[16:17], vcc
	s_cbranch_execz .LBB7_1162
; %bb.1159:
	s_mov_b64 s[18:19], 0
.LBB7_1160:                             ; =>This Inner Loop Header: Depth=1
	s_sleep 1
	global_load_dwordx2 v[1:2], v0, s[48:49] offset:40
	global_load_dwordx2 v[6:7], v0, s[48:49]
	v_mov_b32_e32 v11, v9
	v_mov_b32_e32 v10, v8
	s_waitcnt vmcnt(1)
	v_and_b32_e32 v1, v1, v10
	s_waitcnt vmcnt(0)
	v_mad_u64_u32 v[6:7], s[20:21], v1, 24, v[6:7]
	v_and_b32_e32 v2, v2, v11
	v_mov_b32_e32 v1, v7
	v_mad_u64_u32 v[1:2], s[20:21], v2, 24, v[1:2]
	v_mov_b32_e32 v7, v1
	global_load_dwordx2 v[8:9], v[6:7], off glc
	s_waitcnt vmcnt(0)
	global_atomic_cmpswap_x2 v[8:9], v0, v[8:11], s[48:49] offset:24 glc
	s_waitcnt vmcnt(0)
	buffer_wbinvl1_vol
	v_cmp_eq_u64_e32 vcc, v[8:9], v[10:11]
	s_or_b64 s[18:19], vcc, s[18:19]
	s_andn2_b64 exec, exec, s[18:19]
	s_cbranch_execnz .LBB7_1160
; %bb.1161:
	s_or_b64 exec, exec, s[18:19]
.LBB7_1162:
	s_or_b64 exec, exec, s[16:17]
.LBB7_1163:
	s_or_b64 exec, exec, s[10:11]
	v_mov_b32_e32 v7, 0
	global_load_dwordx2 v[10:11], v7, s[48:49] offset:40
	global_load_dwordx4 v[0:3], v7, s[48:49]
	v_readfirstlane_b32 s10, v8
	v_readfirstlane_b32 s11, v9
	s_mov_b64 s[16:17], exec
	s_waitcnt vmcnt(1)
	v_readfirstlane_b32 s18, v10
	v_readfirstlane_b32 s19, v11
	s_and_b64 s[18:19], s[10:11], s[18:19]
	s_mul_i32 s15, s19, 24
	s_mul_hi_u32 s20, s18, 24
	s_mul_i32 s21, s18, 24
	s_add_i32 s15, s20, s15
	v_mov_b32_e32 v6, s15
	s_waitcnt vmcnt(0)
	v_add_co_u32_e32 v10, vcc, s21, v0
	v_addc_co_u32_e32 v11, vcc, v1, v6, vcc
	s_and_saveexec_b64 s[20:21], s[4:5]
	s_cbranch_execz .LBB7_1165
; %bb.1164:
	v_mov_b32_e32 v12, s16
	v_mov_b32_e32 v13, s17
	;; [unrolled: 1-line block ×4, first 2 shown]
	global_store_dwordx4 v[10:11], v[12:15], off offset:8
.LBB7_1165:
	s_or_b64 exec, exec, s[20:21]
	s_lshl_b64 s[16:17], s[18:19], 12
	v_mov_b32_e32 v6, s17
	v_add_co_u32_e32 v2, vcc, s16, v2
	v_addc_co_u32_e32 v3, vcc, v3, v6, vcc
	s_mov_b32 s16, 0
	v_mov_b32_e32 v6, 33
	v_mov_b32_e32 v8, v7
	;; [unrolled: 1-line block ×3, first 2 shown]
	v_readfirstlane_b32 s20, v2
	v_readfirstlane_b32 s21, v3
	v_add_co_u32_e32 v12, vcc, v2, v40
	s_mov_b32 s17, s16
	s_mov_b32 s18, s16
	;; [unrolled: 1-line block ×3, first 2 shown]
	s_nop 0
	global_store_dwordx4 v40, v[6:9], s[20:21]
	v_addc_co_u32_e32 v13, vcc, 0, v3, vcc
	v_mov_b32_e32 v6, s16
	v_mov_b32_e32 v7, s17
	;; [unrolled: 1-line block ×4, first 2 shown]
	global_store_dwordx4 v40, v[6:9], s[20:21] offset:16
	global_store_dwordx4 v40, v[6:9], s[20:21] offset:32
	;; [unrolled: 1-line block ×3, first 2 shown]
	s_and_saveexec_b64 s[16:17], s[4:5]
	s_cbranch_execz .LBB7_1173
; %bb.1166:
	v_mov_b32_e32 v8, 0
	global_load_dwordx2 v[16:17], v8, s[48:49] offset:32 glc
	global_load_dwordx2 v[2:3], v8, s[48:49] offset:40
	v_mov_b32_e32 v14, s10
	v_mov_b32_e32 v15, s11
	s_waitcnt vmcnt(0)
	v_readfirstlane_b32 s18, v2
	v_readfirstlane_b32 s19, v3
	s_and_b64 s[18:19], s[18:19], s[10:11]
	s_mul_i32 s15, s19, 24
	s_mul_hi_u32 s19, s18, 24
	s_mul_i32 s18, s18, 24
	s_add_i32 s15, s19, s15
	v_mov_b32_e32 v2, s15
	v_add_co_u32_e32 v6, vcc, s18, v0
	v_addc_co_u32_e32 v7, vcc, v1, v2, vcc
	global_store_dwordx2 v[6:7], v[16:17], off
	s_waitcnt vmcnt(0)
	global_atomic_cmpswap_x2 v[2:3], v8, v[14:17], s[48:49] offset:32 glc
	s_waitcnt vmcnt(0)
	v_cmp_ne_u64_e32 vcc, v[2:3], v[16:17]
	s_and_saveexec_b64 s[18:19], vcc
	s_cbranch_execz .LBB7_1169
; %bb.1167:
	s_mov_b64 s[20:21], 0
.LBB7_1168:                             ; =>This Inner Loop Header: Depth=1
	s_sleep 1
	global_store_dwordx2 v[6:7], v[2:3], off
	v_mov_b32_e32 v0, s10
	v_mov_b32_e32 v1, s11
	s_waitcnt vmcnt(0)
	global_atomic_cmpswap_x2 v[0:1], v8, v[0:3], s[48:49] offset:32 glc
	s_waitcnt vmcnt(0)
	v_cmp_eq_u64_e32 vcc, v[0:1], v[2:3]
	v_mov_b32_e32 v3, v1
	s_or_b64 s[20:21], vcc, s[20:21]
	v_mov_b32_e32 v2, v0
	s_andn2_b64 exec, exec, s[20:21]
	s_cbranch_execnz .LBB7_1168
.LBB7_1169:
	s_or_b64 exec, exec, s[18:19]
	v_mov_b32_e32 v3, 0
	global_load_dwordx2 v[0:1], v3, s[48:49] offset:16
	s_mov_b64 s[18:19], exec
	v_mbcnt_lo_u32_b32 v2, s18, 0
	v_mbcnt_hi_u32_b32 v2, s19, v2
	v_cmp_eq_u32_e32 vcc, 0, v2
	s_and_saveexec_b64 s[20:21], vcc
	s_cbranch_execz .LBB7_1171
; %bb.1170:
	s_bcnt1_i32_b64 s15, s[18:19]
	v_mov_b32_e32 v2, s15
	s_waitcnt vmcnt(0)
	global_atomic_add_x2 v[0:1], v[2:3], off offset:8
.LBB7_1171:
	s_or_b64 exec, exec, s[20:21]
	s_waitcnt vmcnt(0)
	global_load_dwordx2 v[2:3], v[0:1], off offset:16
	s_waitcnt vmcnt(0)
	v_cmp_eq_u64_e32 vcc, 0, v[2:3]
	s_cbranch_vccnz .LBB7_1173
; %bb.1172:
	global_load_dword v0, v[0:1], off offset:24
	v_mov_b32_e32 v1, 0
	s_waitcnt vmcnt(0)
	global_store_dwordx2 v[2:3], v[0:1], off
	v_and_b32_e32 v0, 0xffffff, v0
	v_readfirstlane_b32 m0, v0
	s_sendmsg sendmsg(MSG_INTERRUPT)
.LBB7_1173:
	s_or_b64 exec, exec, s[16:17]
	s_branch .LBB7_1177
.LBB7_1174:                             ;   in Loop: Header=BB7_1177 Depth=1
	s_or_b64 exec, exec, s[16:17]
	v_readfirstlane_b32 s15, v0
	s_cmp_eq_u32 s15, 0
	s_cbranch_scc1 .LBB7_1176
; %bb.1175:                             ;   in Loop: Header=BB7_1177 Depth=1
	s_sleep 1
	s_cbranch_execnz .LBB7_1177
	s_branch .LBB7_1179
.LBB7_1176:
	s_branch .LBB7_1179
.LBB7_1177:                             ; =>This Inner Loop Header: Depth=1
	v_mov_b32_e32 v0, 1
	s_and_saveexec_b64 s[16:17], s[4:5]
	s_cbranch_execz .LBB7_1174
; %bb.1178:                             ;   in Loop: Header=BB7_1177 Depth=1
	global_load_dword v0, v[10:11], off offset:20 glc
	s_waitcnt vmcnt(0)
	buffer_wbinvl1_vol
	v_and_b32_e32 v0, 1, v0
	s_branch .LBB7_1174
.LBB7_1179:
	global_load_dwordx2 v[0:1], v[12:13], off
	s_and_saveexec_b64 s[16:17], s[4:5]
	s_cbranch_execz .LBB7_1182
; %bb.1180:
	v_mov_b32_e32 v10, 0
	global_load_dwordx2 v[2:3], v10, s[48:49] offset:40
	global_load_dwordx2 v[11:12], v10, s[48:49] offset:24 glc
	global_load_dwordx2 v[13:14], v10, s[48:49]
	v_mov_b32_e32 v7, s11
	s_mov_b64 s[4:5], 0
	s_waitcnt vmcnt(2)
	v_add_co_u32_e32 v8, vcc, 1, v2
	v_addc_co_u32_e32 v9, vcc, 0, v3, vcc
	v_add_co_u32_e32 v6, vcc, s10, v8
	v_addc_co_u32_e32 v7, vcc, v9, v7, vcc
	v_cmp_eq_u64_e32 vcc, 0, v[6:7]
	v_cndmask_b32_e32 v7, v7, v9, vcc
	v_cndmask_b32_e32 v6, v6, v8, vcc
	v_and_b32_e32 v3, v7, v3
	v_and_b32_e32 v2, v6, v2
	v_mul_lo_u32 v3, v3, 24
	v_mul_hi_u32 v9, v2, 24
	v_mul_lo_u32 v2, v2, 24
	s_waitcnt vmcnt(1)
	v_mov_b32_e32 v8, v11
	v_add_u32_e32 v3, v9, v3
	s_waitcnt vmcnt(0)
	v_add_co_u32_e32 v2, vcc, v13, v2
	v_addc_co_u32_e32 v3, vcc, v14, v3, vcc
	global_store_dwordx2 v[2:3], v[11:12], off
	v_mov_b32_e32 v9, v12
	s_waitcnt vmcnt(0)
	global_atomic_cmpswap_x2 v[8:9], v10, v[6:9], s[48:49] offset:24 glc
	s_waitcnt vmcnt(0)
	v_cmp_ne_u64_e32 vcc, v[8:9], v[11:12]
	s_and_b64 exec, exec, vcc
	s_cbranch_execz .LBB7_1182
.LBB7_1181:                             ; =>This Inner Loop Header: Depth=1
	s_sleep 1
	global_store_dwordx2 v[2:3], v[8:9], off
	s_waitcnt vmcnt(0)
	global_atomic_cmpswap_x2 v[11:12], v10, v[6:9], s[48:49] offset:24 glc
	s_waitcnt vmcnt(0)
	v_cmp_eq_u64_e32 vcc, v[11:12], v[8:9]
	v_mov_b32_e32 v8, v11
	s_or_b64 s[4:5], vcc, s[4:5]
	v_mov_b32_e32 v9, v12
	s_andn2_b64 exec, exec, s[4:5]
	s_cbranch_execnz .LBB7_1181
.LBB7_1182:
	s_or_b64 exec, exec, s[16:17]
	s_and_b64 vcc, exec, s[50:51]
	s_cbranch_vccz .LBB7_1267
; %bb.1183:
	s_waitcnt vmcnt(0)
	v_and_b32_e32 v34, 2, v0
	v_mov_b32_e32 v3, 0
	v_and_b32_e32 v6, -3, v0
	v_mov_b32_e32 v7, v1
	s_mov_b64 s[16:17], 3
	v_mov_b32_e32 v10, 2
	v_mov_b32_e32 v11, 1
	s_getpc_b64 s[10:11]
	s_add_u32 s10, s10, .str.6@rel32@lo+4
	s_addc_u32 s11, s11, .str.6@rel32@hi+12
	s_branch .LBB7_1185
.LBB7_1184:                             ;   in Loop: Header=BB7_1185 Depth=1
	s_or_b64 exec, exec, s[22:23]
	s_sub_u32 s16, s16, s18
	s_subb_u32 s17, s17, s19
	s_add_u32 s10, s10, s18
	s_addc_u32 s11, s11, s19
	s_cmp_lg_u64 s[16:17], 0
	s_cbranch_scc0 .LBB7_1266
.LBB7_1185:                             ; =>This Loop Header: Depth=1
                                        ;     Child Loop BB7_1188 Depth 2
                                        ;     Child Loop BB7_1195 Depth 2
	;; [unrolled: 1-line block ×11, first 2 shown]
	v_cmp_lt_u64_e64 s[4:5], s[16:17], 56
	v_cmp_gt_u64_e64 s[20:21], s[16:17], 7
	s_and_b64 s[4:5], s[4:5], exec
	s_cselect_b32 s19, s17, 0
	s_cselect_b32 s18, s16, 56
	s_and_b64 vcc, exec, s[20:21]
	s_cbranch_vccnz .LBB7_1190
; %bb.1186:                             ;   in Loop: Header=BB7_1185 Depth=1
	v_mov_b32_e32 v14, 0
	s_cmp_eq_u64 s[16:17], 0
	v_mov_b32_e32 v15, 0
	s_mov_b64 s[4:5], 0
	s_cbranch_scc1 .LBB7_1189
; %bb.1187:                             ;   in Loop: Header=BB7_1185 Depth=1
	v_mov_b32_e32 v14, 0
	s_lshl_b64 s[20:21], s[18:19], 3
	s_mov_b64 s[22:23], 0
	v_mov_b32_e32 v15, 0
	s_mov_b64 s[24:25], s[10:11]
.LBB7_1188:                             ;   Parent Loop BB7_1185 Depth=1
                                        ; =>  This Inner Loop Header: Depth=2
	global_load_ubyte v2, v3, s[24:25]
	s_waitcnt vmcnt(0)
	v_and_b32_e32 v2, 0xffff, v2
	v_lshlrev_b64 v[8:9], s22, v[2:3]
	s_add_u32 s22, s22, 8
	s_addc_u32 s23, s23, 0
	s_add_u32 s24, s24, 1
	s_addc_u32 s25, s25, 0
	v_or_b32_e32 v14, v8, v14
	s_cmp_lg_u32 s20, s22
	v_or_b32_e32 v15, v9, v15
	s_cbranch_scc1 .LBB7_1188
.LBB7_1189:                             ;   in Loop: Header=BB7_1185 Depth=1
	s_mov_b32 s15, 0
	s_andn2_b64 vcc, exec, s[4:5]
	s_mov_b64 s[4:5], s[10:11]
	s_cbranch_vccz .LBB7_1191
	s_branch .LBB7_1192
.LBB7_1190:                             ;   in Loop: Header=BB7_1185 Depth=1
                                        ; implicit-def: $vgpr14_vgpr15
                                        ; implicit-def: $sgpr15
	s_mov_b64 s[4:5], s[10:11]
.LBB7_1191:                             ;   in Loop: Header=BB7_1185 Depth=1
	global_load_dwordx2 v[14:15], v3, s[10:11]
	s_add_i32 s15, s18, -8
	s_add_u32 s4, s10, 8
	s_addc_u32 s5, s11, 0
.LBB7_1192:                             ;   in Loop: Header=BB7_1185 Depth=1
	s_cmp_gt_u32 s15, 7
	s_cbranch_scc1 .LBB7_1196
; %bb.1193:                             ;   in Loop: Header=BB7_1185 Depth=1
	s_cmp_eq_u32 s15, 0
	s_cbranch_scc1 .LBB7_1197
; %bb.1194:                             ;   in Loop: Header=BB7_1185 Depth=1
	v_mov_b32_e32 v16, 0
	s_mov_b64 s[20:21], 0
	v_mov_b32_e32 v17, 0
	s_mov_b64 s[22:23], 0
.LBB7_1195:                             ;   Parent Loop BB7_1185 Depth=1
                                        ; =>  This Inner Loop Header: Depth=2
	s_add_u32 s24, s4, s22
	s_addc_u32 s25, s5, s23
	global_load_ubyte v2, v3, s[24:25]
	s_add_u32 s22, s22, 1
	s_addc_u32 s23, s23, 0
	s_waitcnt vmcnt(0)
	v_and_b32_e32 v2, 0xffff, v2
	v_lshlrev_b64 v[8:9], s20, v[2:3]
	s_add_u32 s20, s20, 8
	s_addc_u32 s21, s21, 0
	v_or_b32_e32 v16, v8, v16
	s_cmp_lg_u32 s15, s22
	v_or_b32_e32 v17, v9, v17
	s_cbranch_scc1 .LBB7_1195
	s_branch .LBB7_1198
.LBB7_1196:                             ;   in Loop: Header=BB7_1185 Depth=1
                                        ; implicit-def: $vgpr16_vgpr17
                                        ; implicit-def: $sgpr24
	s_branch .LBB7_1199
.LBB7_1197:                             ;   in Loop: Header=BB7_1185 Depth=1
	v_mov_b32_e32 v16, 0
	v_mov_b32_e32 v17, 0
.LBB7_1198:                             ;   in Loop: Header=BB7_1185 Depth=1
	s_mov_b32 s24, 0
	s_cbranch_execnz .LBB7_1200
.LBB7_1199:                             ;   in Loop: Header=BB7_1185 Depth=1
	global_load_dwordx2 v[16:17], v3, s[4:5]
	s_add_i32 s24, s15, -8
	s_add_u32 s4, s4, 8
	s_addc_u32 s5, s5, 0
.LBB7_1200:                             ;   in Loop: Header=BB7_1185 Depth=1
	s_cmp_gt_u32 s24, 7
	s_cbranch_scc1 .LBB7_1204
; %bb.1201:                             ;   in Loop: Header=BB7_1185 Depth=1
	s_cmp_eq_u32 s24, 0
	s_cbranch_scc1 .LBB7_1205
; %bb.1202:                             ;   in Loop: Header=BB7_1185 Depth=1
	v_mov_b32_e32 v18, 0
	s_mov_b64 s[20:21], 0
	v_mov_b32_e32 v19, 0
	s_mov_b64 s[22:23], 0
.LBB7_1203:                             ;   Parent Loop BB7_1185 Depth=1
                                        ; =>  This Inner Loop Header: Depth=2
	s_add_u32 s26, s4, s22
	s_addc_u32 s27, s5, s23
	global_load_ubyte v2, v3, s[26:27]
	s_add_u32 s22, s22, 1
	s_addc_u32 s23, s23, 0
	s_waitcnt vmcnt(0)
	v_and_b32_e32 v2, 0xffff, v2
	v_lshlrev_b64 v[8:9], s20, v[2:3]
	s_add_u32 s20, s20, 8
	s_addc_u32 s21, s21, 0
	v_or_b32_e32 v18, v8, v18
	s_cmp_lg_u32 s24, s22
	v_or_b32_e32 v19, v9, v19
	s_cbranch_scc1 .LBB7_1203
	s_branch .LBB7_1206
.LBB7_1204:                             ;   in Loop: Header=BB7_1185 Depth=1
                                        ; implicit-def: $sgpr15
	s_branch .LBB7_1207
.LBB7_1205:                             ;   in Loop: Header=BB7_1185 Depth=1
	v_mov_b32_e32 v18, 0
	v_mov_b32_e32 v19, 0
.LBB7_1206:                             ;   in Loop: Header=BB7_1185 Depth=1
	s_mov_b32 s15, 0
	s_cbranch_execnz .LBB7_1208
.LBB7_1207:                             ;   in Loop: Header=BB7_1185 Depth=1
	global_load_dwordx2 v[18:19], v3, s[4:5]
	s_add_i32 s15, s24, -8
	s_add_u32 s4, s4, 8
	s_addc_u32 s5, s5, 0
.LBB7_1208:                             ;   in Loop: Header=BB7_1185 Depth=1
	s_cmp_gt_u32 s15, 7
	s_cbranch_scc1 .LBB7_1212
; %bb.1209:                             ;   in Loop: Header=BB7_1185 Depth=1
	s_cmp_eq_u32 s15, 0
	s_cbranch_scc1 .LBB7_1213
; %bb.1210:                             ;   in Loop: Header=BB7_1185 Depth=1
	v_mov_b32_e32 v20, 0
	s_mov_b64 s[20:21], 0
	v_mov_b32_e32 v21, 0
	s_mov_b64 s[22:23], 0
.LBB7_1211:                             ;   Parent Loop BB7_1185 Depth=1
                                        ; =>  This Inner Loop Header: Depth=2
	s_add_u32 s24, s4, s22
	s_addc_u32 s25, s5, s23
	global_load_ubyte v2, v3, s[24:25]
	s_add_u32 s22, s22, 1
	s_addc_u32 s23, s23, 0
	s_waitcnt vmcnt(0)
	v_and_b32_e32 v2, 0xffff, v2
	v_lshlrev_b64 v[8:9], s20, v[2:3]
	s_add_u32 s20, s20, 8
	s_addc_u32 s21, s21, 0
	v_or_b32_e32 v20, v8, v20
	s_cmp_lg_u32 s15, s22
	v_or_b32_e32 v21, v9, v21
	s_cbranch_scc1 .LBB7_1211
	s_branch .LBB7_1214
.LBB7_1212:                             ;   in Loop: Header=BB7_1185 Depth=1
                                        ; implicit-def: $vgpr20_vgpr21
                                        ; implicit-def: $sgpr24
	s_branch .LBB7_1215
.LBB7_1213:                             ;   in Loop: Header=BB7_1185 Depth=1
	v_mov_b32_e32 v20, 0
	v_mov_b32_e32 v21, 0
.LBB7_1214:                             ;   in Loop: Header=BB7_1185 Depth=1
	s_mov_b32 s24, 0
	s_cbranch_execnz .LBB7_1216
.LBB7_1215:                             ;   in Loop: Header=BB7_1185 Depth=1
	global_load_dwordx2 v[20:21], v3, s[4:5]
	s_add_i32 s24, s15, -8
	s_add_u32 s4, s4, 8
	s_addc_u32 s5, s5, 0
.LBB7_1216:                             ;   in Loop: Header=BB7_1185 Depth=1
	s_cmp_gt_u32 s24, 7
	s_cbranch_scc1 .LBB7_1220
; %bb.1217:                             ;   in Loop: Header=BB7_1185 Depth=1
	s_cmp_eq_u32 s24, 0
	s_cbranch_scc1 .LBB7_1221
; %bb.1218:                             ;   in Loop: Header=BB7_1185 Depth=1
	v_mov_b32_e32 v22, 0
	s_mov_b64 s[20:21], 0
	v_mov_b32_e32 v23, 0
	s_mov_b64 s[22:23], 0
.LBB7_1219:                             ;   Parent Loop BB7_1185 Depth=1
                                        ; =>  This Inner Loop Header: Depth=2
	s_add_u32 s26, s4, s22
	s_addc_u32 s27, s5, s23
	global_load_ubyte v2, v3, s[26:27]
	s_add_u32 s22, s22, 1
	s_addc_u32 s23, s23, 0
	s_waitcnt vmcnt(0)
	v_and_b32_e32 v2, 0xffff, v2
	v_lshlrev_b64 v[8:9], s20, v[2:3]
	s_add_u32 s20, s20, 8
	s_addc_u32 s21, s21, 0
	v_or_b32_e32 v22, v8, v22
	s_cmp_lg_u32 s24, s22
	v_or_b32_e32 v23, v9, v23
	s_cbranch_scc1 .LBB7_1219
	s_branch .LBB7_1222
.LBB7_1220:                             ;   in Loop: Header=BB7_1185 Depth=1
                                        ; implicit-def: $sgpr15
	s_branch .LBB7_1223
.LBB7_1221:                             ;   in Loop: Header=BB7_1185 Depth=1
	v_mov_b32_e32 v22, 0
	v_mov_b32_e32 v23, 0
.LBB7_1222:                             ;   in Loop: Header=BB7_1185 Depth=1
	s_mov_b32 s15, 0
	s_cbranch_execnz .LBB7_1224
.LBB7_1223:                             ;   in Loop: Header=BB7_1185 Depth=1
	global_load_dwordx2 v[22:23], v3, s[4:5]
	s_add_i32 s15, s24, -8
	s_add_u32 s4, s4, 8
	s_addc_u32 s5, s5, 0
.LBB7_1224:                             ;   in Loop: Header=BB7_1185 Depth=1
	s_cmp_gt_u32 s15, 7
	s_cbranch_scc1 .LBB7_1228
; %bb.1225:                             ;   in Loop: Header=BB7_1185 Depth=1
	s_cmp_eq_u32 s15, 0
	s_cbranch_scc1 .LBB7_1229
; %bb.1226:                             ;   in Loop: Header=BB7_1185 Depth=1
	v_mov_b32_e32 v24, 0
	s_mov_b64 s[20:21], 0
	v_mov_b32_e32 v25, 0
	s_mov_b64 s[22:23], 0
.LBB7_1227:                             ;   Parent Loop BB7_1185 Depth=1
                                        ; =>  This Inner Loop Header: Depth=2
	s_add_u32 s24, s4, s22
	s_addc_u32 s25, s5, s23
	global_load_ubyte v2, v3, s[24:25]
	s_add_u32 s22, s22, 1
	s_addc_u32 s23, s23, 0
	s_waitcnt vmcnt(0)
	v_and_b32_e32 v2, 0xffff, v2
	v_lshlrev_b64 v[8:9], s20, v[2:3]
	s_add_u32 s20, s20, 8
	s_addc_u32 s21, s21, 0
	v_or_b32_e32 v24, v8, v24
	s_cmp_lg_u32 s15, s22
	v_or_b32_e32 v25, v9, v25
	s_cbranch_scc1 .LBB7_1227
	s_branch .LBB7_1230
.LBB7_1228:                             ;   in Loop: Header=BB7_1185 Depth=1
                                        ; implicit-def: $vgpr24_vgpr25
                                        ; implicit-def: $sgpr24
	s_branch .LBB7_1231
.LBB7_1229:                             ;   in Loop: Header=BB7_1185 Depth=1
	v_mov_b32_e32 v24, 0
	v_mov_b32_e32 v25, 0
.LBB7_1230:                             ;   in Loop: Header=BB7_1185 Depth=1
	s_mov_b32 s24, 0
	s_cbranch_execnz .LBB7_1232
.LBB7_1231:                             ;   in Loop: Header=BB7_1185 Depth=1
	global_load_dwordx2 v[24:25], v3, s[4:5]
	s_add_i32 s24, s15, -8
	s_add_u32 s4, s4, 8
	s_addc_u32 s5, s5, 0
.LBB7_1232:                             ;   in Loop: Header=BB7_1185 Depth=1
	s_cmp_gt_u32 s24, 7
	s_cbranch_scc1 .LBB7_1236
; %bb.1233:                             ;   in Loop: Header=BB7_1185 Depth=1
	s_cmp_eq_u32 s24, 0
	s_cbranch_scc1 .LBB7_1237
; %bb.1234:                             ;   in Loop: Header=BB7_1185 Depth=1
	v_mov_b32_e32 v26, 0
	s_mov_b64 s[20:21], 0
	v_mov_b32_e32 v27, 0
	s_mov_b64 s[22:23], s[4:5]
.LBB7_1235:                             ;   Parent Loop BB7_1185 Depth=1
                                        ; =>  This Inner Loop Header: Depth=2
	global_load_ubyte v2, v3, s[22:23]
	s_add_i32 s24, s24, -1
	s_waitcnt vmcnt(0)
	v_and_b32_e32 v2, 0xffff, v2
	v_lshlrev_b64 v[8:9], s20, v[2:3]
	s_add_u32 s20, s20, 8
	s_addc_u32 s21, s21, 0
	s_add_u32 s22, s22, 1
	s_addc_u32 s23, s23, 0
	v_or_b32_e32 v26, v8, v26
	s_cmp_lg_u32 s24, 0
	v_or_b32_e32 v27, v9, v27
	s_cbranch_scc1 .LBB7_1235
	s_branch .LBB7_1238
.LBB7_1236:                             ;   in Loop: Header=BB7_1185 Depth=1
	s_branch .LBB7_1239
.LBB7_1237:                             ;   in Loop: Header=BB7_1185 Depth=1
	v_mov_b32_e32 v26, 0
	v_mov_b32_e32 v27, 0
.LBB7_1238:                             ;   in Loop: Header=BB7_1185 Depth=1
	s_cbranch_execnz .LBB7_1240
.LBB7_1239:                             ;   in Loop: Header=BB7_1185 Depth=1
	global_load_dwordx2 v[26:27], v3, s[4:5]
.LBB7_1240:                             ;   in Loop: Header=BB7_1185 Depth=1
	v_readfirstlane_b32 s4, v44
	s_waitcnt vmcnt(0)
	v_mov_b32_e32 v8, 0
	v_mov_b32_e32 v9, 0
	v_cmp_eq_u32_e64 s[4:5], s4, v44
	s_and_saveexec_b64 s[20:21], s[4:5]
	s_cbranch_execz .LBB7_1246
; %bb.1241:                             ;   in Loop: Header=BB7_1185 Depth=1
	global_load_dwordx2 v[30:31], v3, s[48:49] offset:24 glc
	s_waitcnt vmcnt(0)
	buffer_wbinvl1_vol
	global_load_dwordx2 v[8:9], v3, s[48:49] offset:40
	global_load_dwordx2 v[12:13], v3, s[48:49]
	s_waitcnt vmcnt(1)
	v_and_b32_e32 v2, v8, v30
	v_and_b32_e32 v8, v9, v31
	v_mul_lo_u32 v8, v8, 24
	v_mul_hi_u32 v9, v2, 24
	v_mul_lo_u32 v2, v2, 24
	v_add_u32_e32 v9, v9, v8
	s_waitcnt vmcnt(0)
	v_add_co_u32_e32 v8, vcc, v12, v2
	v_addc_co_u32_e32 v9, vcc, v13, v9, vcc
	global_load_dwordx2 v[28:29], v[8:9], off glc
	s_waitcnt vmcnt(0)
	global_atomic_cmpswap_x2 v[8:9], v3, v[28:31], s[48:49] offset:24 glc
	s_waitcnt vmcnt(0)
	buffer_wbinvl1_vol
	v_cmp_ne_u64_e32 vcc, v[8:9], v[30:31]
	s_and_saveexec_b64 s[22:23], vcc
	s_cbranch_execz .LBB7_1245
; %bb.1242:                             ;   in Loop: Header=BB7_1185 Depth=1
	s_mov_b64 s[24:25], 0
.LBB7_1243:                             ;   Parent Loop BB7_1185 Depth=1
                                        ; =>  This Inner Loop Header: Depth=2
	s_sleep 1
	global_load_dwordx2 v[12:13], v3, s[48:49] offset:40
	global_load_dwordx2 v[28:29], v3, s[48:49]
	v_mov_b32_e32 v31, v9
	v_mov_b32_e32 v30, v8
	s_waitcnt vmcnt(1)
	v_and_b32_e32 v2, v12, v30
	s_waitcnt vmcnt(0)
	v_mad_u64_u32 v[8:9], s[26:27], v2, 24, v[28:29]
	v_and_b32_e32 v12, v13, v31
	v_mov_b32_e32 v2, v9
	v_mad_u64_u32 v[12:13], s[26:27], v12, 24, v[2:3]
	v_mov_b32_e32 v9, v12
	global_load_dwordx2 v[28:29], v[8:9], off glc
	s_waitcnt vmcnt(0)
	global_atomic_cmpswap_x2 v[8:9], v3, v[28:31], s[48:49] offset:24 glc
	s_waitcnt vmcnt(0)
	buffer_wbinvl1_vol
	v_cmp_eq_u64_e32 vcc, v[8:9], v[30:31]
	s_or_b64 s[24:25], vcc, s[24:25]
	s_andn2_b64 exec, exec, s[24:25]
	s_cbranch_execnz .LBB7_1243
; %bb.1244:                             ;   in Loop: Header=BB7_1185 Depth=1
	s_or_b64 exec, exec, s[24:25]
.LBB7_1245:                             ;   in Loop: Header=BB7_1185 Depth=1
	s_or_b64 exec, exec, s[22:23]
.LBB7_1246:                             ;   in Loop: Header=BB7_1185 Depth=1
	s_or_b64 exec, exec, s[20:21]
	global_load_dwordx2 v[12:13], v3, s[48:49] offset:40
	global_load_dwordx4 v[28:31], v3, s[48:49]
	v_readfirstlane_b32 s20, v8
	v_readfirstlane_b32 s21, v9
	s_mov_b64 s[22:23], exec
	s_waitcnt vmcnt(1)
	v_readfirstlane_b32 s24, v12
	v_readfirstlane_b32 s25, v13
	s_and_b64 s[24:25], s[20:21], s[24:25]
	s_mul_i32 s15, s25, 24
	s_mul_hi_u32 s26, s24, 24
	s_mul_i32 s27, s24, 24
	s_add_i32 s15, s26, s15
	v_mov_b32_e32 v2, s15
	s_waitcnt vmcnt(0)
	v_add_co_u32_e32 v32, vcc, s27, v28
	v_addc_co_u32_e32 v33, vcc, v29, v2, vcc
	s_and_saveexec_b64 s[26:27], s[4:5]
	s_cbranch_execz .LBB7_1248
; %bb.1247:                             ;   in Loop: Header=BB7_1185 Depth=1
	v_mov_b32_e32 v8, s22
	v_mov_b32_e32 v9, s23
	global_store_dwordx4 v[32:33], v[8:11], off offset:8
.LBB7_1248:                             ;   in Loop: Header=BB7_1185 Depth=1
	s_or_b64 exec, exec, s[26:27]
	s_lshl_b64 s[22:23], s[24:25], 12
	v_mov_b32_e32 v2, s23
	v_add_co_u32_e32 v30, vcc, s22, v30
	v_addc_co_u32_e32 v31, vcc, v31, v2, vcc
	v_cmp_gt_u64_e64 vcc, s[16:17], 56
	v_or_b32_e32 v2, 0, v7
	v_or_b32_e32 v8, v6, v34
	s_lshl_b32 s15, s18, 2
	v_cndmask_b32_e32 v13, v2, v7, vcc
	v_cndmask_b32_e32 v2, v8, v6, vcc
	s_add_i32 s15, s15, 28
	s_and_b32 s15, s15, 0x1e0
	v_and_b32_e32 v2, 0xffffff1f, v2
	v_or_b32_e32 v12, s15, v2
	v_readfirstlane_b32 s22, v30
	v_readfirstlane_b32 s23, v31
	s_nop 4
	global_store_dwordx4 v40, v[12:15], s[22:23]
	global_store_dwordx4 v40, v[16:19], s[22:23] offset:16
	global_store_dwordx4 v40, v[20:23], s[22:23] offset:32
	;; [unrolled: 1-line block ×3, first 2 shown]
	s_and_saveexec_b64 s[22:23], s[4:5]
	s_cbranch_execz .LBB7_1256
; %bb.1249:                             ;   in Loop: Header=BB7_1185 Depth=1
	global_load_dwordx2 v[16:17], v3, s[48:49] offset:32 glc
	global_load_dwordx2 v[6:7], v3, s[48:49] offset:40
	v_mov_b32_e32 v14, s20
	v_mov_b32_e32 v15, s21
	s_waitcnt vmcnt(0)
	v_readfirstlane_b32 s24, v6
	v_readfirstlane_b32 s25, v7
	s_and_b64 s[24:25], s[24:25], s[20:21]
	s_mul_i32 s15, s25, 24
	s_mul_hi_u32 s25, s24, 24
	s_mul_i32 s24, s24, 24
	s_add_i32 s15, s25, s15
	v_mov_b32_e32 v2, s15
	v_add_co_u32_e32 v12, vcc, s24, v28
	v_addc_co_u32_e32 v13, vcc, v29, v2, vcc
	global_store_dwordx2 v[12:13], v[16:17], off
	s_waitcnt vmcnt(0)
	global_atomic_cmpswap_x2 v[8:9], v3, v[14:17], s[48:49] offset:32 glc
	s_waitcnt vmcnt(0)
	v_cmp_ne_u64_e32 vcc, v[8:9], v[16:17]
	s_and_saveexec_b64 s[24:25], vcc
	s_cbranch_execz .LBB7_1252
; %bb.1250:                             ;   in Loop: Header=BB7_1185 Depth=1
	s_mov_b64 s[26:27], 0
.LBB7_1251:                             ;   Parent Loop BB7_1185 Depth=1
                                        ; =>  This Inner Loop Header: Depth=2
	s_sleep 1
	global_store_dwordx2 v[12:13], v[8:9], off
	v_mov_b32_e32 v6, s20
	v_mov_b32_e32 v7, s21
	s_waitcnt vmcnt(0)
	global_atomic_cmpswap_x2 v[6:7], v3, v[6:9], s[48:49] offset:32 glc
	s_waitcnt vmcnt(0)
	v_cmp_eq_u64_e32 vcc, v[6:7], v[8:9]
	v_mov_b32_e32 v9, v7
	s_or_b64 s[26:27], vcc, s[26:27]
	v_mov_b32_e32 v8, v6
	s_andn2_b64 exec, exec, s[26:27]
	s_cbranch_execnz .LBB7_1251
.LBB7_1252:                             ;   in Loop: Header=BB7_1185 Depth=1
	s_or_b64 exec, exec, s[24:25]
	global_load_dwordx2 v[6:7], v3, s[48:49] offset:16
	s_mov_b64 s[26:27], exec
	v_mbcnt_lo_u32_b32 v2, s26, 0
	v_mbcnt_hi_u32_b32 v2, s27, v2
	v_cmp_eq_u32_e32 vcc, 0, v2
	s_and_saveexec_b64 s[24:25], vcc
	s_cbranch_execz .LBB7_1254
; %bb.1253:                             ;   in Loop: Header=BB7_1185 Depth=1
	s_bcnt1_i32_b64 s15, s[26:27]
	v_mov_b32_e32 v2, s15
	s_waitcnt vmcnt(0)
	global_atomic_add_x2 v[6:7], v[2:3], off offset:8
.LBB7_1254:                             ;   in Loop: Header=BB7_1185 Depth=1
	s_or_b64 exec, exec, s[24:25]
	s_waitcnt vmcnt(0)
	global_load_dwordx2 v[8:9], v[6:7], off offset:16
	s_waitcnt vmcnt(0)
	v_cmp_eq_u64_e32 vcc, 0, v[8:9]
	s_cbranch_vccnz .LBB7_1256
; %bb.1255:                             ;   in Loop: Header=BB7_1185 Depth=1
	global_load_dword v2, v[6:7], off offset:24
	s_waitcnt vmcnt(0)
	global_store_dwordx2 v[8:9], v[2:3], off
	v_and_b32_e32 v2, 0xffffff, v2
	v_readfirstlane_b32 m0, v2
	s_sendmsg sendmsg(MSG_INTERRUPT)
.LBB7_1256:                             ;   in Loop: Header=BB7_1185 Depth=1
	s_or_b64 exec, exec, s[22:23]
	v_add_co_u32_e32 v6, vcc, v30, v40
	v_addc_co_u32_e32 v7, vcc, 0, v31, vcc
	s_branch .LBB7_1260
.LBB7_1257:                             ;   in Loop: Header=BB7_1260 Depth=2
	s_or_b64 exec, exec, s[22:23]
	v_readfirstlane_b32 s15, v2
	s_cmp_eq_u32 s15, 0
	s_cbranch_scc1 .LBB7_1259
; %bb.1258:                             ;   in Loop: Header=BB7_1260 Depth=2
	s_sleep 1
	s_cbranch_execnz .LBB7_1260
	s_branch .LBB7_1262
.LBB7_1259:                             ;   in Loop: Header=BB7_1185 Depth=1
	s_branch .LBB7_1262
.LBB7_1260:                             ;   Parent Loop BB7_1185 Depth=1
                                        ; =>  This Inner Loop Header: Depth=2
	v_mov_b32_e32 v2, 1
	s_and_saveexec_b64 s[22:23], s[4:5]
	s_cbranch_execz .LBB7_1257
; %bb.1261:                             ;   in Loop: Header=BB7_1260 Depth=2
	global_load_dword v2, v[32:33], off offset:20 glc
	s_waitcnt vmcnt(0)
	buffer_wbinvl1_vol
	v_and_b32_e32 v2, 1, v2
	s_branch .LBB7_1257
.LBB7_1262:                             ;   in Loop: Header=BB7_1185 Depth=1
	global_load_dwordx4 v[6:9], v[6:7], off
	s_and_saveexec_b64 s[22:23], s[4:5]
	s_cbranch_execz .LBB7_1184
; %bb.1263:                             ;   in Loop: Header=BB7_1185 Depth=1
	global_load_dwordx2 v[8:9], v3, s[48:49] offset:40
	global_load_dwordx2 v[16:17], v3, s[48:49] offset:24 glc
	global_load_dwordx2 v[18:19], v3, s[48:49]
	v_mov_b32_e32 v2, s21
	s_waitcnt vmcnt(2)
	v_add_co_u32_e32 v14, vcc, 1, v8
	v_addc_co_u32_e32 v15, vcc, 0, v9, vcc
	v_add_co_u32_e32 v12, vcc, s20, v14
	v_addc_co_u32_e32 v13, vcc, v15, v2, vcc
	v_cmp_eq_u64_e32 vcc, 0, v[12:13]
	v_cndmask_b32_e32 v13, v13, v15, vcc
	v_cndmask_b32_e32 v12, v12, v14, vcc
	v_and_b32_e32 v2, v13, v9
	v_and_b32_e32 v8, v12, v8
	v_mul_lo_u32 v2, v2, 24
	v_mul_hi_u32 v9, v8, 24
	v_mul_lo_u32 v8, v8, 24
	s_waitcnt vmcnt(1)
	v_mov_b32_e32 v14, v16
	v_mov_b32_e32 v15, v17
	v_add_u32_e32 v2, v9, v2
	s_waitcnt vmcnt(0)
	v_add_co_u32_e32 v8, vcc, v18, v8
	v_addc_co_u32_e32 v9, vcc, v19, v2, vcc
	global_store_dwordx2 v[8:9], v[16:17], off
	s_waitcnt vmcnt(0)
	global_atomic_cmpswap_x2 v[14:15], v3, v[12:15], s[48:49] offset:24 glc
	s_waitcnt vmcnt(0)
	v_cmp_ne_u64_e32 vcc, v[14:15], v[16:17]
	s_and_b64 exec, exec, vcc
	s_cbranch_execz .LBB7_1184
; %bb.1264:                             ;   in Loop: Header=BB7_1185 Depth=1
	s_mov_b64 s[4:5], 0
.LBB7_1265:                             ;   Parent Loop BB7_1185 Depth=1
                                        ; =>  This Inner Loop Header: Depth=2
	s_sleep 1
	global_store_dwordx2 v[8:9], v[14:15], off
	s_waitcnt vmcnt(0)
	global_atomic_cmpswap_x2 v[16:17], v3, v[12:15], s[48:49] offset:24 glc
	s_waitcnt vmcnt(0)
	v_cmp_eq_u64_e32 vcc, v[16:17], v[14:15]
	v_mov_b32_e32 v14, v16
	s_or_b64 s[4:5], vcc, s[4:5]
	v_mov_b32_e32 v15, v17
	s_andn2_b64 exec, exec, s[4:5]
	s_cbranch_execnz .LBB7_1265
	s_branch .LBB7_1184
.LBB7_1266:
	s_branch .LBB7_1294
.LBB7_1267:
                                        ; implicit-def: $vgpr6_vgpr7
	s_cbranch_execz .LBB7_1294
; %bb.1268:
	v_readfirstlane_b32 s4, v44
	v_mov_b32_e32 v10, 0
	v_mov_b32_e32 v11, 0
	v_cmp_eq_u32_e64 s[4:5], s4, v44
	s_and_saveexec_b64 s[10:11], s[4:5]
	s_cbranch_execz .LBB7_1274
; %bb.1269:
	v_mov_b32_e32 v2, 0
	global_load_dwordx2 v[8:9], v2, s[48:49] offset:24 glc
	s_waitcnt vmcnt(0)
	buffer_wbinvl1_vol
	global_load_dwordx2 v[6:7], v2, s[48:49] offset:40
	global_load_dwordx2 v[10:11], v2, s[48:49]
	s_waitcnt vmcnt(1)
	v_and_b32_e32 v3, v6, v8
	v_and_b32_e32 v6, v7, v9
	v_mul_lo_u32 v6, v6, 24
	v_mul_hi_u32 v7, v3, 24
	v_mul_lo_u32 v3, v3, 24
	v_add_u32_e32 v7, v7, v6
	s_waitcnt vmcnt(0)
	v_add_co_u32_e32 v6, vcc, v10, v3
	v_addc_co_u32_e32 v7, vcc, v11, v7, vcc
	global_load_dwordx2 v[6:7], v[6:7], off glc
	s_waitcnt vmcnt(0)
	global_atomic_cmpswap_x2 v[10:11], v2, v[6:9], s[48:49] offset:24 glc
	s_waitcnt vmcnt(0)
	buffer_wbinvl1_vol
	v_cmp_ne_u64_e32 vcc, v[10:11], v[8:9]
	s_and_saveexec_b64 s[16:17], vcc
	s_cbranch_execz .LBB7_1273
; %bb.1270:
	s_mov_b64 s[18:19], 0
.LBB7_1271:                             ; =>This Inner Loop Header: Depth=1
	s_sleep 1
	global_load_dwordx2 v[6:7], v2, s[48:49] offset:40
	global_load_dwordx2 v[12:13], v2, s[48:49]
	v_mov_b32_e32 v8, v10
	v_mov_b32_e32 v9, v11
	s_waitcnt vmcnt(1)
	v_and_b32_e32 v3, v6, v8
	s_waitcnt vmcnt(0)
	v_mad_u64_u32 v[10:11], s[20:21], v3, 24, v[12:13]
	v_and_b32_e32 v6, v7, v9
	v_mov_b32_e32 v3, v11
	v_mad_u64_u32 v[6:7], s[20:21], v6, 24, v[3:4]
	v_mov_b32_e32 v11, v6
	global_load_dwordx2 v[6:7], v[10:11], off glc
	s_waitcnt vmcnt(0)
	global_atomic_cmpswap_x2 v[10:11], v2, v[6:9], s[48:49] offset:24 glc
	s_waitcnt vmcnt(0)
	buffer_wbinvl1_vol
	v_cmp_eq_u64_e32 vcc, v[10:11], v[8:9]
	s_or_b64 s[18:19], vcc, s[18:19]
	s_andn2_b64 exec, exec, s[18:19]
	s_cbranch_execnz .LBB7_1271
; %bb.1272:
	s_or_b64 exec, exec, s[18:19]
.LBB7_1273:
	s_or_b64 exec, exec, s[16:17]
.LBB7_1274:
	s_or_b64 exec, exec, s[10:11]
	v_mov_b32_e32 v2, 0
	global_load_dwordx2 v[12:13], v2, s[48:49] offset:40
	global_load_dwordx4 v[6:9], v2, s[48:49]
	v_readfirstlane_b32 s10, v10
	v_readfirstlane_b32 s11, v11
	s_mov_b64 s[16:17], exec
	s_waitcnt vmcnt(1)
	v_readfirstlane_b32 s18, v12
	v_readfirstlane_b32 s19, v13
	s_and_b64 s[18:19], s[10:11], s[18:19]
	s_mul_i32 s15, s19, 24
	s_mul_hi_u32 s20, s18, 24
	s_mul_i32 s21, s18, 24
	s_add_i32 s15, s20, s15
	v_mov_b32_e32 v3, s15
	s_waitcnt vmcnt(0)
	v_add_co_u32_e32 v10, vcc, s21, v6
	v_addc_co_u32_e32 v11, vcc, v7, v3, vcc
	s_and_saveexec_b64 s[20:21], s[4:5]
	s_cbranch_execz .LBB7_1276
; %bb.1275:
	v_mov_b32_e32 v12, s16
	v_mov_b32_e32 v13, s17
	v_mov_b32_e32 v14, 2
	v_mov_b32_e32 v15, 1
	global_store_dwordx4 v[10:11], v[12:15], off offset:8
.LBB7_1276:
	s_or_b64 exec, exec, s[20:21]
	s_lshl_b64 s[16:17], s[18:19], 12
	v_mov_b32_e32 v3, s17
	v_add_co_u32_e32 v12, vcc, s16, v8
	v_addc_co_u32_e32 v13, vcc, v9, v3, vcc
	s_movk_i32 s15, 0xff1f
	v_and_or_b32 v0, v0, s15, 32
	s_mov_b32 s16, 0
	v_mov_b32_e32 v3, v2
	v_readfirstlane_b32 s20, v12
	v_readfirstlane_b32 s21, v13
	v_add_co_u32_e32 v8, vcc, v12, v40
	s_mov_b32 s17, s16
	s_mov_b32 s18, s16
	;; [unrolled: 1-line block ×3, first 2 shown]
	s_nop 0
	global_store_dwordx4 v40, v[0:3], s[20:21]
	v_addc_co_u32_e32 v9, vcc, 0, v13, vcc
	v_mov_b32_e32 v0, s16
	v_mov_b32_e32 v1, s17
	;; [unrolled: 1-line block ×4, first 2 shown]
	global_store_dwordx4 v40, v[0:3], s[20:21] offset:16
	global_store_dwordx4 v40, v[0:3], s[20:21] offset:32
	;; [unrolled: 1-line block ×3, first 2 shown]
	s_and_saveexec_b64 s[16:17], s[4:5]
	s_cbranch_execz .LBB7_1284
; %bb.1277:
	v_mov_b32_e32 v12, 0
	global_load_dwordx2 v[15:16], v12, s[48:49] offset:32 glc
	global_load_dwordx2 v[0:1], v12, s[48:49] offset:40
	v_mov_b32_e32 v13, s10
	v_mov_b32_e32 v14, s11
	s_waitcnt vmcnt(0)
	v_readfirstlane_b32 s18, v0
	v_readfirstlane_b32 s19, v1
	s_and_b64 s[18:19], s[18:19], s[10:11]
	s_mul_i32 s15, s19, 24
	s_mul_hi_u32 s19, s18, 24
	s_mul_i32 s18, s18, 24
	s_add_i32 s15, s19, s15
	v_mov_b32_e32 v0, s15
	v_add_co_u32_e32 v6, vcc, s18, v6
	v_addc_co_u32_e32 v7, vcc, v7, v0, vcc
	global_store_dwordx2 v[6:7], v[15:16], off
	s_waitcnt vmcnt(0)
	global_atomic_cmpswap_x2 v[2:3], v12, v[13:16], s[48:49] offset:32 glc
	s_waitcnt vmcnt(0)
	v_cmp_ne_u64_e32 vcc, v[2:3], v[15:16]
	s_and_saveexec_b64 s[18:19], vcc
	s_cbranch_execz .LBB7_1280
; %bb.1278:
	s_mov_b64 s[20:21], 0
.LBB7_1279:                             ; =>This Inner Loop Header: Depth=1
	s_sleep 1
	global_store_dwordx2 v[6:7], v[2:3], off
	v_mov_b32_e32 v0, s10
	v_mov_b32_e32 v1, s11
	s_waitcnt vmcnt(0)
	global_atomic_cmpswap_x2 v[0:1], v12, v[0:3], s[48:49] offset:32 glc
	s_waitcnt vmcnt(0)
	v_cmp_eq_u64_e32 vcc, v[0:1], v[2:3]
	v_mov_b32_e32 v3, v1
	s_or_b64 s[20:21], vcc, s[20:21]
	v_mov_b32_e32 v2, v0
	s_andn2_b64 exec, exec, s[20:21]
	s_cbranch_execnz .LBB7_1279
.LBB7_1280:
	s_or_b64 exec, exec, s[18:19]
	v_mov_b32_e32 v3, 0
	global_load_dwordx2 v[0:1], v3, s[48:49] offset:16
	s_mov_b64 s[18:19], exec
	v_mbcnt_lo_u32_b32 v2, s18, 0
	v_mbcnt_hi_u32_b32 v2, s19, v2
	v_cmp_eq_u32_e32 vcc, 0, v2
	s_and_saveexec_b64 s[20:21], vcc
	s_cbranch_execz .LBB7_1282
; %bb.1281:
	s_bcnt1_i32_b64 s15, s[18:19]
	v_mov_b32_e32 v2, s15
	s_waitcnt vmcnt(0)
	global_atomic_add_x2 v[0:1], v[2:3], off offset:8
.LBB7_1282:
	s_or_b64 exec, exec, s[20:21]
	s_waitcnt vmcnt(0)
	global_load_dwordx2 v[2:3], v[0:1], off offset:16
	s_waitcnt vmcnt(0)
	v_cmp_eq_u64_e32 vcc, 0, v[2:3]
	s_cbranch_vccnz .LBB7_1284
; %bb.1283:
	global_load_dword v0, v[0:1], off offset:24
	v_mov_b32_e32 v1, 0
	s_waitcnt vmcnt(0)
	global_store_dwordx2 v[2:3], v[0:1], off
	v_and_b32_e32 v0, 0xffffff, v0
	v_readfirstlane_b32 m0, v0
	s_sendmsg sendmsg(MSG_INTERRUPT)
.LBB7_1284:
	s_or_b64 exec, exec, s[16:17]
	s_branch .LBB7_1288
.LBB7_1285:                             ;   in Loop: Header=BB7_1288 Depth=1
	s_or_b64 exec, exec, s[16:17]
	v_readfirstlane_b32 s15, v0
	s_cmp_eq_u32 s15, 0
	s_cbranch_scc1 .LBB7_1287
; %bb.1286:                             ;   in Loop: Header=BB7_1288 Depth=1
	s_sleep 1
	s_cbranch_execnz .LBB7_1288
	s_branch .LBB7_1290
.LBB7_1287:
	s_branch .LBB7_1290
.LBB7_1288:                             ; =>This Inner Loop Header: Depth=1
	v_mov_b32_e32 v0, 1
	s_and_saveexec_b64 s[16:17], s[4:5]
	s_cbranch_execz .LBB7_1285
; %bb.1289:                             ;   in Loop: Header=BB7_1288 Depth=1
	global_load_dword v0, v[10:11], off offset:20 glc
	s_waitcnt vmcnt(0)
	buffer_wbinvl1_vol
	v_and_b32_e32 v0, 1, v0
	s_branch .LBB7_1285
.LBB7_1290:
	global_load_dwordx2 v[6:7], v[8:9], off
	s_and_saveexec_b64 s[16:17], s[4:5]
	s_cbranch_execz .LBB7_1293
; %bb.1291:
	v_mov_b32_e32 v10, 0
	global_load_dwordx2 v[2:3], v10, s[48:49] offset:40
	global_load_dwordx2 v[11:12], v10, s[48:49] offset:24 glc
	global_load_dwordx2 v[8:9], v10, s[48:49]
	v_mov_b32_e32 v1, s11
	s_mov_b64 s[4:5], 0
	s_waitcnt vmcnt(2)
	v_add_co_u32_e32 v13, vcc, 1, v2
	v_addc_co_u32_e32 v14, vcc, 0, v3, vcc
	v_add_co_u32_e32 v0, vcc, s10, v13
	v_addc_co_u32_e32 v1, vcc, v14, v1, vcc
	v_cmp_eq_u64_e32 vcc, 0, v[0:1]
	v_cndmask_b32_e32 v1, v1, v14, vcc
	v_cndmask_b32_e32 v0, v0, v13, vcc
	v_and_b32_e32 v3, v1, v3
	v_and_b32_e32 v2, v0, v2
	v_mul_lo_u32 v3, v3, 24
	v_mul_hi_u32 v13, v2, 24
	v_mul_lo_u32 v14, v2, 24
	s_waitcnt vmcnt(1)
	v_mov_b32_e32 v2, v11
	v_add_u32_e32 v3, v13, v3
	s_waitcnt vmcnt(0)
	v_add_co_u32_e32 v8, vcc, v8, v14
	v_addc_co_u32_e32 v9, vcc, v9, v3, vcc
	global_store_dwordx2 v[8:9], v[11:12], off
	v_mov_b32_e32 v3, v12
	s_waitcnt vmcnt(0)
	global_atomic_cmpswap_x2 v[2:3], v10, v[0:3], s[48:49] offset:24 glc
	s_waitcnt vmcnt(0)
	v_cmp_ne_u64_e32 vcc, v[2:3], v[11:12]
	s_and_b64 exec, exec, vcc
	s_cbranch_execz .LBB7_1293
.LBB7_1292:                             ; =>This Inner Loop Header: Depth=1
	s_sleep 1
	global_store_dwordx2 v[8:9], v[2:3], off
	s_waitcnt vmcnt(0)
	global_atomic_cmpswap_x2 v[11:12], v10, v[0:3], s[48:49] offset:24 glc
	s_waitcnt vmcnt(0)
	v_cmp_eq_u64_e32 vcc, v[11:12], v[2:3]
	v_mov_b32_e32 v2, v11
	s_or_b64 s[4:5], vcc, s[4:5]
	v_mov_b32_e32 v3, v12
	s_andn2_b64 exec, exec, s[4:5]
	s_cbranch_execnz .LBB7_1292
.LBB7_1293:
	s_or_b64 exec, exec, s[16:17]
.LBB7_1294:
	v_readfirstlane_b32 s4, v44
	v_mov_b32_e32 v10, 0
	v_mov_b32_e32 v11, 0
	v_cmp_eq_u32_e64 s[4:5], s4, v44
	s_and_saveexec_b64 s[10:11], s[4:5]
	s_cbranch_execz .LBB7_1300
; %bb.1295:
	s_waitcnt vmcnt(0)
	v_mov_b32_e32 v0, 0
	global_load_dwordx2 v[12:13], v0, s[48:49] offset:24 glc
	s_waitcnt vmcnt(0)
	buffer_wbinvl1_vol
	global_load_dwordx2 v[1:2], v0, s[48:49] offset:40
	global_load_dwordx2 v[8:9], v0, s[48:49]
	s_waitcnt vmcnt(1)
	v_and_b32_e32 v1, v1, v12
	v_and_b32_e32 v2, v2, v13
	v_mul_lo_u32 v2, v2, 24
	v_mul_hi_u32 v3, v1, 24
	v_mul_lo_u32 v1, v1, 24
	v_add_u32_e32 v2, v3, v2
	s_waitcnt vmcnt(0)
	v_add_co_u32_e32 v1, vcc, v8, v1
	v_addc_co_u32_e32 v2, vcc, v9, v2, vcc
	global_load_dwordx2 v[10:11], v[1:2], off glc
	s_waitcnt vmcnt(0)
	global_atomic_cmpswap_x2 v[10:11], v0, v[10:13], s[48:49] offset:24 glc
	s_waitcnt vmcnt(0)
	buffer_wbinvl1_vol
	v_cmp_ne_u64_e32 vcc, v[10:11], v[12:13]
	s_and_saveexec_b64 s[16:17], vcc
	s_cbranch_execz .LBB7_1299
; %bb.1296:
	s_mov_b64 s[18:19], 0
.LBB7_1297:                             ; =>This Inner Loop Header: Depth=1
	s_sleep 1
	global_load_dwordx2 v[1:2], v0, s[48:49] offset:40
	global_load_dwordx2 v[8:9], v0, s[48:49]
	v_mov_b32_e32 v13, v11
	v_mov_b32_e32 v12, v10
	s_waitcnt vmcnt(1)
	v_and_b32_e32 v1, v1, v12
	s_waitcnt vmcnt(0)
	v_mad_u64_u32 v[8:9], s[20:21], v1, 24, v[8:9]
	v_and_b32_e32 v2, v2, v13
	v_mov_b32_e32 v1, v9
	v_mad_u64_u32 v[1:2], s[20:21], v2, 24, v[1:2]
	v_mov_b32_e32 v9, v1
	global_load_dwordx2 v[10:11], v[8:9], off glc
	s_waitcnt vmcnt(0)
	global_atomic_cmpswap_x2 v[10:11], v0, v[10:13], s[48:49] offset:24 glc
	s_waitcnt vmcnt(0)
	buffer_wbinvl1_vol
	v_cmp_eq_u64_e32 vcc, v[10:11], v[12:13]
	s_or_b64 s[18:19], vcc, s[18:19]
	s_andn2_b64 exec, exec, s[18:19]
	s_cbranch_execnz .LBB7_1297
; %bb.1298:
	s_or_b64 exec, exec, s[18:19]
.LBB7_1299:
	s_or_b64 exec, exec, s[16:17]
.LBB7_1300:
	s_or_b64 exec, exec, s[10:11]
	s_waitcnt vmcnt(0)
	v_mov_b32_e32 v9, 0
	global_load_dwordx2 v[12:13], v9, s[48:49] offset:40
	global_load_dwordx4 v[0:3], v9, s[48:49]
	v_readfirstlane_b32 s10, v10
	v_readfirstlane_b32 s11, v11
	s_mov_b64 s[16:17], exec
	s_waitcnt vmcnt(1)
	v_readfirstlane_b32 s18, v12
	v_readfirstlane_b32 s19, v13
	s_and_b64 s[18:19], s[10:11], s[18:19]
	s_mul_i32 s15, s19, 24
	s_mul_hi_u32 s20, s18, 24
	s_mul_i32 s21, s18, 24
	s_add_i32 s15, s20, s15
	v_mov_b32_e32 v8, s15
	s_waitcnt vmcnt(0)
	v_add_co_u32_e32 v10, vcc, s21, v0
	v_addc_co_u32_e32 v11, vcc, v1, v8, vcc
	s_and_saveexec_b64 s[20:21], s[4:5]
	s_cbranch_execz .LBB7_1302
; %bb.1301:
	v_mov_b32_e32 v12, s16
	v_mov_b32_e32 v13, s17
	v_mov_b32_e32 v14, 2
	v_mov_b32_e32 v15, 1
	global_store_dwordx4 v[10:11], v[12:15], off offset:8
.LBB7_1302:
	s_or_b64 exec, exec, s[20:21]
	s_lshl_b64 s[16:17], s[18:19], 12
	v_mov_b32_e32 v8, s17
	v_add_co_u32_e32 v2, vcc, s16, v2
	v_addc_co_u32_e32 v3, vcc, v3, v8, vcc
	s_movk_i32 s15, 0xff1d
	v_and_or_b32 v6, v6, s15, 34
	s_mov_b32 s16, 0
	v_mov_b32_e32 v8, 10
	v_readfirstlane_b32 s20, v2
	v_readfirstlane_b32 s21, v3
	s_mov_b32 s17, s16
	s_mov_b32 s18, s16
	;; [unrolled: 1-line block ×3, first 2 shown]
	s_nop 1
	global_store_dwordx4 v40, v[6:9], s[20:21]
	s_nop 0
	v_mov_b32_e32 v6, s16
	v_mov_b32_e32 v7, s17
	;; [unrolled: 1-line block ×4, first 2 shown]
	global_store_dwordx4 v40, v[6:9], s[20:21] offset:16
	global_store_dwordx4 v40, v[6:9], s[20:21] offset:32
	;; [unrolled: 1-line block ×3, first 2 shown]
	s_and_saveexec_b64 s[16:17], s[4:5]
	s_cbranch_execz .LBB7_1310
; %bb.1303:
	v_mov_b32_e32 v8, 0
	global_load_dwordx2 v[14:15], v8, s[48:49] offset:32 glc
	global_load_dwordx2 v[2:3], v8, s[48:49] offset:40
	v_mov_b32_e32 v12, s10
	v_mov_b32_e32 v13, s11
	s_waitcnt vmcnt(0)
	v_readfirstlane_b32 s18, v2
	v_readfirstlane_b32 s19, v3
	s_and_b64 s[18:19], s[18:19], s[10:11]
	s_mul_i32 s15, s19, 24
	s_mul_hi_u32 s19, s18, 24
	s_mul_i32 s18, s18, 24
	s_add_i32 s15, s19, s15
	v_mov_b32_e32 v2, s15
	v_add_co_u32_e32 v6, vcc, s18, v0
	v_addc_co_u32_e32 v7, vcc, v1, v2, vcc
	global_store_dwordx2 v[6:7], v[14:15], off
	s_waitcnt vmcnt(0)
	global_atomic_cmpswap_x2 v[2:3], v8, v[12:15], s[48:49] offset:32 glc
	s_waitcnt vmcnt(0)
	v_cmp_ne_u64_e32 vcc, v[2:3], v[14:15]
	s_and_saveexec_b64 s[18:19], vcc
	s_cbranch_execz .LBB7_1306
; %bb.1304:
	s_mov_b64 s[20:21], 0
.LBB7_1305:                             ; =>This Inner Loop Header: Depth=1
	s_sleep 1
	global_store_dwordx2 v[6:7], v[2:3], off
	v_mov_b32_e32 v0, s10
	v_mov_b32_e32 v1, s11
	s_waitcnt vmcnt(0)
	global_atomic_cmpswap_x2 v[0:1], v8, v[0:3], s[48:49] offset:32 glc
	s_waitcnt vmcnt(0)
	v_cmp_eq_u64_e32 vcc, v[0:1], v[2:3]
	v_mov_b32_e32 v3, v1
	s_or_b64 s[20:21], vcc, s[20:21]
	v_mov_b32_e32 v2, v0
	s_andn2_b64 exec, exec, s[20:21]
	s_cbranch_execnz .LBB7_1305
.LBB7_1306:
	s_or_b64 exec, exec, s[18:19]
	v_mov_b32_e32 v3, 0
	global_load_dwordx2 v[0:1], v3, s[48:49] offset:16
	s_mov_b64 s[18:19], exec
	v_mbcnt_lo_u32_b32 v2, s18, 0
	v_mbcnt_hi_u32_b32 v2, s19, v2
	v_cmp_eq_u32_e32 vcc, 0, v2
	s_and_saveexec_b64 s[20:21], vcc
	s_cbranch_execz .LBB7_1308
; %bb.1307:
	s_bcnt1_i32_b64 s15, s[18:19]
	v_mov_b32_e32 v2, s15
	s_waitcnt vmcnt(0)
	global_atomic_add_x2 v[0:1], v[2:3], off offset:8
.LBB7_1308:
	s_or_b64 exec, exec, s[20:21]
	s_waitcnt vmcnt(0)
	global_load_dwordx2 v[2:3], v[0:1], off offset:16
	s_waitcnt vmcnt(0)
	v_cmp_eq_u64_e32 vcc, 0, v[2:3]
	s_cbranch_vccnz .LBB7_1310
; %bb.1309:
	global_load_dword v0, v[0:1], off offset:24
	v_mov_b32_e32 v1, 0
	s_waitcnt vmcnt(0)
	global_store_dwordx2 v[2:3], v[0:1], off
	v_and_b32_e32 v0, 0xffffff, v0
	v_readfirstlane_b32 m0, v0
	s_sendmsg sendmsg(MSG_INTERRUPT)
.LBB7_1310:
	s_or_b64 exec, exec, s[16:17]
	s_branch .LBB7_1314
.LBB7_1311:                             ;   in Loop: Header=BB7_1314 Depth=1
	s_or_b64 exec, exec, s[16:17]
	v_readfirstlane_b32 s15, v0
	s_cmp_eq_u32 s15, 0
	s_cbranch_scc1 .LBB7_1313
; %bb.1312:                             ;   in Loop: Header=BB7_1314 Depth=1
	s_sleep 1
	s_cbranch_execnz .LBB7_1314
	s_branch .LBB7_1316
.LBB7_1313:
	s_branch .LBB7_1316
.LBB7_1314:                             ; =>This Inner Loop Header: Depth=1
	v_mov_b32_e32 v0, 1
	s_and_saveexec_b64 s[16:17], s[4:5]
	s_cbranch_execz .LBB7_1311
; %bb.1315:                             ;   in Loop: Header=BB7_1314 Depth=1
	global_load_dword v0, v[10:11], off offset:20 glc
	s_waitcnt vmcnt(0)
	buffer_wbinvl1_vol
	v_and_b32_e32 v0, 1, v0
	s_branch .LBB7_1311
.LBB7_1316:
	s_and_saveexec_b64 s[16:17], s[4:5]
	s_cbranch_execz .LBB7_1319
; %bb.1317:
	v_mov_b32_e32 v8, 0
	global_load_dwordx2 v[2:3], v8, s[48:49] offset:40
	global_load_dwordx2 v[9:10], v8, s[48:49] offset:24 glc
	global_load_dwordx2 v[6:7], v8, s[48:49]
	v_mov_b32_e32 v1, s11
	s_mov_b64 s[4:5], 0
	s_waitcnt vmcnt(2)
	v_add_co_u32_e32 v11, vcc, 1, v2
	v_addc_co_u32_e32 v12, vcc, 0, v3, vcc
	v_add_co_u32_e32 v0, vcc, s10, v11
	v_addc_co_u32_e32 v1, vcc, v12, v1, vcc
	v_cmp_eq_u64_e32 vcc, 0, v[0:1]
	v_cndmask_b32_e32 v1, v1, v12, vcc
	v_cndmask_b32_e32 v0, v0, v11, vcc
	v_and_b32_e32 v3, v1, v3
	v_and_b32_e32 v2, v0, v2
	v_mul_lo_u32 v3, v3, 24
	v_mul_hi_u32 v11, v2, 24
	v_mul_lo_u32 v12, v2, 24
	s_waitcnt vmcnt(1)
	v_mov_b32_e32 v2, v9
	v_add_u32_e32 v3, v11, v3
	s_waitcnt vmcnt(0)
	v_add_co_u32_e32 v6, vcc, v6, v12
	v_addc_co_u32_e32 v7, vcc, v7, v3, vcc
	global_store_dwordx2 v[6:7], v[9:10], off
	v_mov_b32_e32 v3, v10
	s_waitcnt vmcnt(0)
	global_atomic_cmpswap_x2 v[2:3], v8, v[0:3], s[48:49] offset:24 glc
	s_waitcnt vmcnt(0)
	v_cmp_ne_u64_e32 vcc, v[2:3], v[9:10]
	s_and_b64 exec, exec, vcc
	s_cbranch_execz .LBB7_1319
.LBB7_1318:                             ; =>This Inner Loop Header: Depth=1
	s_sleep 1
	global_store_dwordx2 v[6:7], v[2:3], off
	s_waitcnt vmcnt(0)
	global_atomic_cmpswap_x2 v[9:10], v8, v[0:3], s[48:49] offset:24 glc
	s_waitcnt vmcnt(0)
	v_cmp_eq_u64_e32 vcc, v[9:10], v[2:3]
	v_mov_b32_e32 v2, v9
	s_or_b64 s[4:5], vcc, s[4:5]
	v_mov_b32_e32 v3, v10
	s_andn2_b64 exec, exec, s[4:5]
	s_cbranch_execnz .LBB7_1318
.LBB7_1319:
	s_or_b64 exec, exec, s[16:17]
	v_readfirstlane_b32 s4, v44
	v_mov_b32_e32 v8, 0
	v_mov_b32_e32 v9, 0
	v_cmp_eq_u32_e64 s[4:5], s4, v44
	s_and_saveexec_b64 s[10:11], s[4:5]
	s_cbranch_execz .LBB7_1325
; %bb.1320:
	v_mov_b32_e32 v0, 0
	global_load_dwordx2 v[10:11], v0, s[48:49] offset:24 glc
	s_waitcnt vmcnt(0)
	buffer_wbinvl1_vol
	global_load_dwordx2 v[1:2], v0, s[48:49] offset:40
	global_load_dwordx2 v[6:7], v0, s[48:49]
	s_waitcnt vmcnt(1)
	v_and_b32_e32 v1, v1, v10
	v_and_b32_e32 v2, v2, v11
	v_mul_lo_u32 v2, v2, 24
	v_mul_hi_u32 v3, v1, 24
	v_mul_lo_u32 v1, v1, 24
	v_add_u32_e32 v2, v3, v2
	s_waitcnt vmcnt(0)
	v_add_co_u32_e32 v1, vcc, v6, v1
	v_addc_co_u32_e32 v2, vcc, v7, v2, vcc
	global_load_dwordx2 v[8:9], v[1:2], off glc
	s_waitcnt vmcnt(0)
	global_atomic_cmpswap_x2 v[8:9], v0, v[8:11], s[48:49] offset:24 glc
	s_waitcnt vmcnt(0)
	buffer_wbinvl1_vol
	v_cmp_ne_u64_e32 vcc, v[8:9], v[10:11]
	s_and_saveexec_b64 s[16:17], vcc
	s_cbranch_execz .LBB7_1324
; %bb.1321:
	s_mov_b64 s[18:19], 0
.LBB7_1322:                             ; =>This Inner Loop Header: Depth=1
	s_sleep 1
	global_load_dwordx2 v[1:2], v0, s[48:49] offset:40
	global_load_dwordx2 v[6:7], v0, s[48:49]
	v_mov_b32_e32 v11, v9
	v_mov_b32_e32 v10, v8
	s_waitcnt vmcnt(1)
	v_and_b32_e32 v1, v1, v10
	s_waitcnt vmcnt(0)
	v_mad_u64_u32 v[6:7], s[20:21], v1, 24, v[6:7]
	v_and_b32_e32 v2, v2, v11
	v_mov_b32_e32 v1, v7
	v_mad_u64_u32 v[1:2], s[20:21], v2, 24, v[1:2]
	v_mov_b32_e32 v7, v1
	global_load_dwordx2 v[8:9], v[6:7], off glc
	s_waitcnt vmcnt(0)
	global_atomic_cmpswap_x2 v[8:9], v0, v[8:11], s[48:49] offset:24 glc
	s_waitcnt vmcnt(0)
	buffer_wbinvl1_vol
	v_cmp_eq_u64_e32 vcc, v[8:9], v[10:11]
	s_or_b64 s[18:19], vcc, s[18:19]
	s_andn2_b64 exec, exec, s[18:19]
	s_cbranch_execnz .LBB7_1322
; %bb.1323:
	s_or_b64 exec, exec, s[18:19]
.LBB7_1324:
	s_or_b64 exec, exec, s[16:17]
.LBB7_1325:
	s_or_b64 exec, exec, s[10:11]
	v_mov_b32_e32 v7, 0
	global_load_dwordx2 v[10:11], v7, s[48:49] offset:40
	global_load_dwordx4 v[0:3], v7, s[48:49]
	v_readfirstlane_b32 s10, v8
	v_readfirstlane_b32 s11, v9
	s_mov_b64 s[16:17], exec
	s_waitcnt vmcnt(1)
	v_readfirstlane_b32 s18, v10
	v_readfirstlane_b32 s19, v11
	s_and_b64 s[18:19], s[10:11], s[18:19]
	s_mul_i32 s15, s19, 24
	s_mul_hi_u32 s20, s18, 24
	s_mul_i32 s21, s18, 24
	s_add_i32 s15, s20, s15
	v_mov_b32_e32 v6, s15
	s_waitcnt vmcnt(0)
	v_add_co_u32_e32 v10, vcc, s21, v0
	v_addc_co_u32_e32 v11, vcc, v1, v6, vcc
	s_and_saveexec_b64 s[20:21], s[4:5]
	s_cbranch_execz .LBB7_1327
; %bb.1326:
	v_mov_b32_e32 v12, s16
	v_mov_b32_e32 v13, s17
	;; [unrolled: 1-line block ×4, first 2 shown]
	global_store_dwordx4 v[10:11], v[12:15], off offset:8
.LBB7_1327:
	s_or_b64 exec, exec, s[20:21]
	s_lshl_b64 s[16:17], s[18:19], 12
	v_mov_b32_e32 v6, s17
	v_add_co_u32_e32 v2, vcc, s16, v2
	v_addc_co_u32_e32 v3, vcc, v3, v6, vcc
	s_mov_b32 s16, 0
	v_mov_b32_e32 v6, 33
	v_mov_b32_e32 v8, v7
	;; [unrolled: 1-line block ×3, first 2 shown]
	v_readfirstlane_b32 s20, v2
	v_readfirstlane_b32 s21, v3
	v_add_co_u32_e32 v12, vcc, v2, v40
	s_mov_b32 s17, s16
	s_mov_b32 s18, s16
	;; [unrolled: 1-line block ×3, first 2 shown]
	s_nop 0
	global_store_dwordx4 v40, v[6:9], s[20:21]
	v_addc_co_u32_e32 v13, vcc, 0, v3, vcc
	v_mov_b32_e32 v6, s16
	v_mov_b32_e32 v7, s17
	;; [unrolled: 1-line block ×4, first 2 shown]
	global_store_dwordx4 v40, v[6:9], s[20:21] offset:16
	global_store_dwordx4 v40, v[6:9], s[20:21] offset:32
	;; [unrolled: 1-line block ×3, first 2 shown]
	s_and_saveexec_b64 s[16:17], s[4:5]
	s_cbranch_execz .LBB7_1335
; %bb.1328:
	v_mov_b32_e32 v8, 0
	global_load_dwordx2 v[16:17], v8, s[48:49] offset:32 glc
	global_load_dwordx2 v[2:3], v8, s[48:49] offset:40
	v_mov_b32_e32 v14, s10
	v_mov_b32_e32 v15, s11
	s_waitcnt vmcnt(0)
	v_readfirstlane_b32 s18, v2
	v_readfirstlane_b32 s19, v3
	s_and_b64 s[18:19], s[18:19], s[10:11]
	s_mul_i32 s15, s19, 24
	s_mul_hi_u32 s19, s18, 24
	s_mul_i32 s18, s18, 24
	s_add_i32 s15, s19, s15
	v_mov_b32_e32 v2, s15
	v_add_co_u32_e32 v6, vcc, s18, v0
	v_addc_co_u32_e32 v7, vcc, v1, v2, vcc
	global_store_dwordx2 v[6:7], v[16:17], off
	s_waitcnt vmcnt(0)
	global_atomic_cmpswap_x2 v[2:3], v8, v[14:17], s[48:49] offset:32 glc
	s_waitcnt vmcnt(0)
	v_cmp_ne_u64_e32 vcc, v[2:3], v[16:17]
	s_and_saveexec_b64 s[18:19], vcc
	s_cbranch_execz .LBB7_1331
; %bb.1329:
	s_mov_b64 s[20:21], 0
.LBB7_1330:                             ; =>This Inner Loop Header: Depth=1
	s_sleep 1
	global_store_dwordx2 v[6:7], v[2:3], off
	v_mov_b32_e32 v0, s10
	v_mov_b32_e32 v1, s11
	s_waitcnt vmcnt(0)
	global_atomic_cmpswap_x2 v[0:1], v8, v[0:3], s[48:49] offset:32 glc
	s_waitcnt vmcnt(0)
	v_cmp_eq_u64_e32 vcc, v[0:1], v[2:3]
	v_mov_b32_e32 v3, v1
	s_or_b64 s[20:21], vcc, s[20:21]
	v_mov_b32_e32 v2, v0
	s_andn2_b64 exec, exec, s[20:21]
	s_cbranch_execnz .LBB7_1330
.LBB7_1331:
	s_or_b64 exec, exec, s[18:19]
	v_mov_b32_e32 v3, 0
	global_load_dwordx2 v[0:1], v3, s[48:49] offset:16
	s_mov_b64 s[18:19], exec
	v_mbcnt_lo_u32_b32 v2, s18, 0
	v_mbcnt_hi_u32_b32 v2, s19, v2
	v_cmp_eq_u32_e32 vcc, 0, v2
	s_and_saveexec_b64 s[20:21], vcc
	s_cbranch_execz .LBB7_1333
; %bb.1332:
	s_bcnt1_i32_b64 s15, s[18:19]
	v_mov_b32_e32 v2, s15
	s_waitcnt vmcnt(0)
	global_atomic_add_x2 v[0:1], v[2:3], off offset:8
.LBB7_1333:
	s_or_b64 exec, exec, s[20:21]
	s_waitcnt vmcnt(0)
	global_load_dwordx2 v[2:3], v[0:1], off offset:16
	s_waitcnt vmcnt(0)
	v_cmp_eq_u64_e32 vcc, 0, v[2:3]
	s_cbranch_vccnz .LBB7_1335
; %bb.1334:
	global_load_dword v0, v[0:1], off offset:24
	v_mov_b32_e32 v1, 0
	s_waitcnt vmcnt(0)
	global_store_dwordx2 v[2:3], v[0:1], off
	v_and_b32_e32 v0, 0xffffff, v0
	v_readfirstlane_b32 m0, v0
	s_sendmsg sendmsg(MSG_INTERRUPT)
.LBB7_1335:
	s_or_b64 exec, exec, s[16:17]
	s_branch .LBB7_1339
.LBB7_1336:                             ;   in Loop: Header=BB7_1339 Depth=1
	s_or_b64 exec, exec, s[16:17]
	v_readfirstlane_b32 s15, v0
	s_cmp_eq_u32 s15, 0
	s_cbranch_scc1 .LBB7_1338
; %bb.1337:                             ;   in Loop: Header=BB7_1339 Depth=1
	s_sleep 1
	s_cbranch_execnz .LBB7_1339
	s_branch .LBB7_1341
.LBB7_1338:
	s_branch .LBB7_1341
.LBB7_1339:                             ; =>This Inner Loop Header: Depth=1
	v_mov_b32_e32 v0, 1
	s_and_saveexec_b64 s[16:17], s[4:5]
	s_cbranch_execz .LBB7_1336
; %bb.1340:                             ;   in Loop: Header=BB7_1339 Depth=1
	global_load_dword v0, v[10:11], off offset:20 glc
	s_waitcnt vmcnt(0)
	buffer_wbinvl1_vol
	v_and_b32_e32 v0, 1, v0
	s_branch .LBB7_1336
.LBB7_1341:
	global_load_dwordx2 v[6:7], v[12:13], off
	s_and_saveexec_b64 s[16:17], s[4:5]
	s_cbranch_execz .LBB7_1344
; %bb.1342:
	v_mov_b32_e32 v10, 0
	global_load_dwordx2 v[2:3], v10, s[48:49] offset:40
	global_load_dwordx2 v[11:12], v10, s[48:49] offset:24 glc
	global_load_dwordx2 v[8:9], v10, s[48:49]
	v_mov_b32_e32 v1, s11
	s_mov_b64 s[4:5], 0
	s_waitcnt vmcnt(2)
	v_add_co_u32_e32 v13, vcc, 1, v2
	v_addc_co_u32_e32 v14, vcc, 0, v3, vcc
	v_add_co_u32_e32 v0, vcc, s10, v13
	v_addc_co_u32_e32 v1, vcc, v14, v1, vcc
	v_cmp_eq_u64_e32 vcc, 0, v[0:1]
	v_cndmask_b32_e32 v1, v1, v14, vcc
	v_cndmask_b32_e32 v0, v0, v13, vcc
	v_and_b32_e32 v3, v1, v3
	v_and_b32_e32 v2, v0, v2
	v_mul_lo_u32 v3, v3, 24
	v_mul_hi_u32 v13, v2, 24
	v_mul_lo_u32 v14, v2, 24
	s_waitcnt vmcnt(1)
	v_mov_b32_e32 v2, v11
	v_add_u32_e32 v3, v13, v3
	s_waitcnt vmcnt(0)
	v_add_co_u32_e32 v8, vcc, v8, v14
	v_addc_co_u32_e32 v9, vcc, v9, v3, vcc
	global_store_dwordx2 v[8:9], v[11:12], off
	v_mov_b32_e32 v3, v12
	s_waitcnt vmcnt(0)
	global_atomic_cmpswap_x2 v[2:3], v10, v[0:3], s[48:49] offset:24 glc
	s_waitcnt vmcnt(0)
	v_cmp_ne_u64_e32 vcc, v[2:3], v[11:12]
	s_and_b64 exec, exec, vcc
	s_cbranch_execz .LBB7_1344
.LBB7_1343:                             ; =>This Inner Loop Header: Depth=1
	s_sleep 1
	global_store_dwordx2 v[8:9], v[2:3], off
	s_waitcnt vmcnt(0)
	global_atomic_cmpswap_x2 v[11:12], v10, v[0:3], s[48:49] offset:24 glc
	s_waitcnt vmcnt(0)
	v_cmp_eq_u64_e32 vcc, v[11:12], v[2:3]
	v_mov_b32_e32 v2, v11
	s_or_b64 s[4:5], vcc, s[4:5]
	v_mov_b32_e32 v3, v12
	s_andn2_b64 exec, exec, s[4:5]
	s_cbranch_execnz .LBB7_1343
.LBB7_1344:
	s_or_b64 exec, exec, s[16:17]
	s_and_b64 vcc, exec, s[6:7]
	s_cbranch_vccz .LBB7_1429
; %bb.1345:
	s_waitcnt vmcnt(0)
	v_and_b32_e32 v31, 2, v6
	v_mov_b32_e32 v28, 0
	v_and_b32_e32 v0, -3, v6
	v_mov_b32_e32 v1, v7
	s_mov_b64 s[10:11], 3
	v_mov_b32_e32 v10, 2
	v_mov_b32_e32 v11, 1
	s_getpc_b64 s[6:7]
	s_add_u32 s6, s6, .str.5@rel32@lo+4
	s_addc_u32 s7, s7, .str.5@rel32@hi+12
	s_branch .LBB7_1347
.LBB7_1346:                             ;   in Loop: Header=BB7_1347 Depth=1
	s_or_b64 exec, exec, s[20:21]
	s_sub_u32 s10, s10, s16
	s_subb_u32 s11, s11, s17
	s_add_u32 s6, s6, s16
	s_addc_u32 s7, s7, s17
	s_cmp_lg_u64 s[10:11], 0
	s_cbranch_scc0 .LBB7_1428
.LBB7_1347:                             ; =>This Loop Header: Depth=1
                                        ;     Child Loop BB7_1350 Depth 2
                                        ;     Child Loop BB7_1357 Depth 2
	;; [unrolled: 1-line block ×11, first 2 shown]
	v_cmp_lt_u64_e64 s[4:5], s[10:11], 56
	v_cmp_gt_u64_e64 s[18:19], s[10:11], 7
	s_and_b64 s[4:5], s[4:5], exec
	s_cselect_b32 s17, s11, 0
	s_cselect_b32 s16, s10, 56
	s_and_b64 vcc, exec, s[18:19]
	s_cbranch_vccnz .LBB7_1352
; %bb.1348:                             ;   in Loop: Header=BB7_1347 Depth=1
	s_waitcnt vmcnt(0)
	v_mov_b32_e32 v2, 0
	s_cmp_eq_u64 s[10:11], 0
	v_mov_b32_e32 v3, 0
	s_mov_b64 s[4:5], 0
	s_cbranch_scc1 .LBB7_1351
; %bb.1349:                             ;   in Loop: Header=BB7_1347 Depth=1
	v_mov_b32_e32 v2, 0
	s_lshl_b64 s[18:19], s[16:17], 3
	s_mov_b64 s[20:21], 0
	v_mov_b32_e32 v3, 0
	s_mov_b64 s[22:23], s[6:7]
.LBB7_1350:                             ;   Parent Loop BB7_1347 Depth=1
                                        ; =>  This Inner Loop Header: Depth=2
	global_load_ubyte v8, v28, s[22:23]
	s_waitcnt vmcnt(0)
	v_and_b32_e32 v27, 0xffff, v8
	v_lshlrev_b64 v[8:9], s20, v[27:28]
	s_add_u32 s20, s20, 8
	s_addc_u32 s21, s21, 0
	s_add_u32 s22, s22, 1
	s_addc_u32 s23, s23, 0
	v_or_b32_e32 v2, v8, v2
	s_cmp_lg_u32 s18, s20
	v_or_b32_e32 v3, v9, v3
	s_cbranch_scc1 .LBB7_1350
.LBB7_1351:                             ;   in Loop: Header=BB7_1347 Depth=1
	s_mov_b32 s15, 0
	s_andn2_b64 vcc, exec, s[4:5]
	s_mov_b64 s[4:5], s[6:7]
	s_cbranch_vccz .LBB7_1353
	s_branch .LBB7_1354
.LBB7_1352:                             ;   in Loop: Header=BB7_1347 Depth=1
                                        ; implicit-def: $vgpr2_vgpr3
                                        ; implicit-def: $sgpr15
	s_mov_b64 s[4:5], s[6:7]
.LBB7_1353:                             ;   in Loop: Header=BB7_1347 Depth=1
	global_load_dwordx2 v[2:3], v28, s[6:7]
	s_add_i32 s15, s16, -8
	s_add_u32 s4, s6, 8
	s_addc_u32 s5, s7, 0
.LBB7_1354:                             ;   in Loop: Header=BB7_1347 Depth=1
	s_cmp_gt_u32 s15, 7
	s_cbranch_scc1 .LBB7_1358
; %bb.1355:                             ;   in Loop: Header=BB7_1347 Depth=1
	s_cmp_eq_u32 s15, 0
	s_cbranch_scc1 .LBB7_1359
; %bb.1356:                             ;   in Loop: Header=BB7_1347 Depth=1
	v_mov_b32_e32 v12, 0
	s_mov_b64 s[18:19], 0
	v_mov_b32_e32 v13, 0
	s_mov_b64 s[20:21], 0
.LBB7_1357:                             ;   Parent Loop BB7_1347 Depth=1
                                        ; =>  This Inner Loop Header: Depth=2
	s_add_u32 s22, s4, s20
	s_addc_u32 s23, s5, s21
	global_load_ubyte v8, v28, s[22:23]
	s_add_u32 s20, s20, 1
	s_addc_u32 s21, s21, 0
	s_waitcnt vmcnt(0)
	v_and_b32_e32 v27, 0xffff, v8
	v_lshlrev_b64 v[8:9], s18, v[27:28]
	s_add_u32 s18, s18, 8
	s_addc_u32 s19, s19, 0
	v_or_b32_e32 v12, v8, v12
	s_cmp_lg_u32 s15, s20
	v_or_b32_e32 v13, v9, v13
	s_cbranch_scc1 .LBB7_1357
	s_branch .LBB7_1360
.LBB7_1358:                             ;   in Loop: Header=BB7_1347 Depth=1
                                        ; implicit-def: $vgpr12_vgpr13
                                        ; implicit-def: $sgpr22
	s_branch .LBB7_1361
.LBB7_1359:                             ;   in Loop: Header=BB7_1347 Depth=1
	v_mov_b32_e32 v12, 0
	v_mov_b32_e32 v13, 0
.LBB7_1360:                             ;   in Loop: Header=BB7_1347 Depth=1
	s_mov_b32 s22, 0
	s_cbranch_execnz .LBB7_1362
.LBB7_1361:                             ;   in Loop: Header=BB7_1347 Depth=1
	global_load_dwordx2 v[12:13], v28, s[4:5]
	s_add_i32 s22, s15, -8
	s_add_u32 s4, s4, 8
	s_addc_u32 s5, s5, 0
.LBB7_1362:                             ;   in Loop: Header=BB7_1347 Depth=1
	s_cmp_gt_u32 s22, 7
	s_cbranch_scc1 .LBB7_1366
; %bb.1363:                             ;   in Loop: Header=BB7_1347 Depth=1
	s_cmp_eq_u32 s22, 0
	s_cbranch_scc1 .LBB7_1367
; %bb.1364:                             ;   in Loop: Header=BB7_1347 Depth=1
	v_mov_b32_e32 v14, 0
	s_mov_b64 s[18:19], 0
	v_mov_b32_e32 v15, 0
	s_mov_b64 s[20:21], 0
.LBB7_1365:                             ;   Parent Loop BB7_1347 Depth=1
                                        ; =>  This Inner Loop Header: Depth=2
	s_add_u32 s24, s4, s20
	s_addc_u32 s25, s5, s21
	global_load_ubyte v8, v28, s[24:25]
	s_add_u32 s20, s20, 1
	s_addc_u32 s21, s21, 0
	s_waitcnt vmcnt(0)
	v_and_b32_e32 v27, 0xffff, v8
	v_lshlrev_b64 v[8:9], s18, v[27:28]
	s_add_u32 s18, s18, 8
	s_addc_u32 s19, s19, 0
	v_or_b32_e32 v14, v8, v14
	s_cmp_lg_u32 s22, s20
	v_or_b32_e32 v15, v9, v15
	s_cbranch_scc1 .LBB7_1365
	s_branch .LBB7_1368
.LBB7_1366:                             ;   in Loop: Header=BB7_1347 Depth=1
                                        ; implicit-def: $sgpr15
	s_branch .LBB7_1369
.LBB7_1367:                             ;   in Loop: Header=BB7_1347 Depth=1
	v_mov_b32_e32 v14, 0
	v_mov_b32_e32 v15, 0
.LBB7_1368:                             ;   in Loop: Header=BB7_1347 Depth=1
	s_mov_b32 s15, 0
	s_cbranch_execnz .LBB7_1370
.LBB7_1369:                             ;   in Loop: Header=BB7_1347 Depth=1
	global_load_dwordx2 v[14:15], v28, s[4:5]
	s_add_i32 s15, s22, -8
	s_add_u32 s4, s4, 8
	s_addc_u32 s5, s5, 0
.LBB7_1370:                             ;   in Loop: Header=BB7_1347 Depth=1
	s_cmp_gt_u32 s15, 7
	s_cbranch_scc1 .LBB7_1374
; %bb.1371:                             ;   in Loop: Header=BB7_1347 Depth=1
	s_cmp_eq_u32 s15, 0
	s_cbranch_scc1 .LBB7_1375
; %bb.1372:                             ;   in Loop: Header=BB7_1347 Depth=1
	v_mov_b32_e32 v16, 0
	s_mov_b64 s[18:19], 0
	v_mov_b32_e32 v17, 0
	s_mov_b64 s[20:21], 0
.LBB7_1373:                             ;   Parent Loop BB7_1347 Depth=1
                                        ; =>  This Inner Loop Header: Depth=2
	s_add_u32 s22, s4, s20
	s_addc_u32 s23, s5, s21
	global_load_ubyte v8, v28, s[22:23]
	s_add_u32 s20, s20, 1
	s_addc_u32 s21, s21, 0
	s_waitcnt vmcnt(0)
	v_and_b32_e32 v27, 0xffff, v8
	v_lshlrev_b64 v[8:9], s18, v[27:28]
	s_add_u32 s18, s18, 8
	s_addc_u32 s19, s19, 0
	v_or_b32_e32 v16, v8, v16
	s_cmp_lg_u32 s15, s20
	v_or_b32_e32 v17, v9, v17
	s_cbranch_scc1 .LBB7_1373
	s_branch .LBB7_1376
.LBB7_1374:                             ;   in Loop: Header=BB7_1347 Depth=1
                                        ; implicit-def: $vgpr16_vgpr17
                                        ; implicit-def: $sgpr22
	s_branch .LBB7_1377
.LBB7_1375:                             ;   in Loop: Header=BB7_1347 Depth=1
	v_mov_b32_e32 v16, 0
	v_mov_b32_e32 v17, 0
.LBB7_1376:                             ;   in Loop: Header=BB7_1347 Depth=1
	s_mov_b32 s22, 0
	s_cbranch_execnz .LBB7_1378
.LBB7_1377:                             ;   in Loop: Header=BB7_1347 Depth=1
	global_load_dwordx2 v[16:17], v28, s[4:5]
	s_add_i32 s22, s15, -8
	s_add_u32 s4, s4, 8
	s_addc_u32 s5, s5, 0
.LBB7_1378:                             ;   in Loop: Header=BB7_1347 Depth=1
	s_cmp_gt_u32 s22, 7
	s_cbranch_scc1 .LBB7_1382
; %bb.1379:                             ;   in Loop: Header=BB7_1347 Depth=1
	s_cmp_eq_u32 s22, 0
	s_cbranch_scc1 .LBB7_1383
; %bb.1380:                             ;   in Loop: Header=BB7_1347 Depth=1
	v_mov_b32_e32 v18, 0
	s_mov_b64 s[18:19], 0
	v_mov_b32_e32 v19, 0
	s_mov_b64 s[20:21], 0
.LBB7_1381:                             ;   Parent Loop BB7_1347 Depth=1
                                        ; =>  This Inner Loop Header: Depth=2
	s_add_u32 s24, s4, s20
	s_addc_u32 s25, s5, s21
	global_load_ubyte v8, v28, s[24:25]
	s_add_u32 s20, s20, 1
	s_addc_u32 s21, s21, 0
	s_waitcnt vmcnt(0)
	v_and_b32_e32 v27, 0xffff, v8
	v_lshlrev_b64 v[8:9], s18, v[27:28]
	s_add_u32 s18, s18, 8
	s_addc_u32 s19, s19, 0
	v_or_b32_e32 v18, v8, v18
	s_cmp_lg_u32 s22, s20
	v_or_b32_e32 v19, v9, v19
	s_cbranch_scc1 .LBB7_1381
	s_branch .LBB7_1384
.LBB7_1382:                             ;   in Loop: Header=BB7_1347 Depth=1
                                        ; implicit-def: $sgpr15
	s_branch .LBB7_1385
.LBB7_1383:                             ;   in Loop: Header=BB7_1347 Depth=1
	v_mov_b32_e32 v18, 0
	v_mov_b32_e32 v19, 0
.LBB7_1384:                             ;   in Loop: Header=BB7_1347 Depth=1
	s_mov_b32 s15, 0
	s_cbranch_execnz .LBB7_1386
.LBB7_1385:                             ;   in Loop: Header=BB7_1347 Depth=1
	global_load_dwordx2 v[18:19], v28, s[4:5]
	s_add_i32 s15, s22, -8
	s_add_u32 s4, s4, 8
	s_addc_u32 s5, s5, 0
.LBB7_1386:                             ;   in Loop: Header=BB7_1347 Depth=1
	s_cmp_gt_u32 s15, 7
	s_cbranch_scc1 .LBB7_1390
; %bb.1387:                             ;   in Loop: Header=BB7_1347 Depth=1
	s_cmp_eq_u32 s15, 0
	s_cbranch_scc1 .LBB7_1391
; %bb.1388:                             ;   in Loop: Header=BB7_1347 Depth=1
	v_mov_b32_e32 v20, 0
	s_mov_b64 s[18:19], 0
	v_mov_b32_e32 v21, 0
	s_mov_b64 s[20:21], 0
.LBB7_1389:                             ;   Parent Loop BB7_1347 Depth=1
                                        ; =>  This Inner Loop Header: Depth=2
	s_add_u32 s22, s4, s20
	s_addc_u32 s23, s5, s21
	global_load_ubyte v8, v28, s[22:23]
	s_add_u32 s20, s20, 1
	s_addc_u32 s21, s21, 0
	s_waitcnt vmcnt(0)
	v_and_b32_e32 v27, 0xffff, v8
	v_lshlrev_b64 v[8:9], s18, v[27:28]
	s_add_u32 s18, s18, 8
	s_addc_u32 s19, s19, 0
	v_or_b32_e32 v20, v8, v20
	s_cmp_lg_u32 s15, s20
	v_or_b32_e32 v21, v9, v21
	s_cbranch_scc1 .LBB7_1389
	s_branch .LBB7_1392
.LBB7_1390:                             ;   in Loop: Header=BB7_1347 Depth=1
                                        ; implicit-def: $vgpr20_vgpr21
                                        ; implicit-def: $sgpr22
	s_branch .LBB7_1393
.LBB7_1391:                             ;   in Loop: Header=BB7_1347 Depth=1
	v_mov_b32_e32 v20, 0
	v_mov_b32_e32 v21, 0
.LBB7_1392:                             ;   in Loop: Header=BB7_1347 Depth=1
	s_mov_b32 s22, 0
	s_cbranch_execnz .LBB7_1394
.LBB7_1393:                             ;   in Loop: Header=BB7_1347 Depth=1
	global_load_dwordx2 v[20:21], v28, s[4:5]
	s_add_i32 s22, s15, -8
	s_add_u32 s4, s4, 8
	s_addc_u32 s5, s5, 0
.LBB7_1394:                             ;   in Loop: Header=BB7_1347 Depth=1
	s_cmp_gt_u32 s22, 7
	s_cbranch_scc1 .LBB7_1398
; %bb.1395:                             ;   in Loop: Header=BB7_1347 Depth=1
	s_cmp_eq_u32 s22, 0
	s_cbranch_scc1 .LBB7_1399
; %bb.1396:                             ;   in Loop: Header=BB7_1347 Depth=1
	v_mov_b32_e32 v22, 0
	s_mov_b64 s[18:19], 0
	v_mov_b32_e32 v23, 0
	s_mov_b64 s[20:21], s[4:5]
.LBB7_1397:                             ;   Parent Loop BB7_1347 Depth=1
                                        ; =>  This Inner Loop Header: Depth=2
	global_load_ubyte v8, v28, s[20:21]
	s_add_i32 s22, s22, -1
	s_waitcnt vmcnt(0)
	v_and_b32_e32 v27, 0xffff, v8
	v_lshlrev_b64 v[8:9], s18, v[27:28]
	s_add_u32 s18, s18, 8
	s_addc_u32 s19, s19, 0
	s_add_u32 s20, s20, 1
	s_addc_u32 s21, s21, 0
	v_or_b32_e32 v22, v8, v22
	s_cmp_lg_u32 s22, 0
	v_or_b32_e32 v23, v9, v23
	s_cbranch_scc1 .LBB7_1397
	s_branch .LBB7_1400
.LBB7_1398:                             ;   in Loop: Header=BB7_1347 Depth=1
	s_branch .LBB7_1401
.LBB7_1399:                             ;   in Loop: Header=BB7_1347 Depth=1
	v_mov_b32_e32 v22, 0
	v_mov_b32_e32 v23, 0
.LBB7_1400:                             ;   in Loop: Header=BB7_1347 Depth=1
	s_cbranch_execnz .LBB7_1402
.LBB7_1401:                             ;   in Loop: Header=BB7_1347 Depth=1
	global_load_dwordx2 v[22:23], v28, s[4:5]
.LBB7_1402:                             ;   in Loop: Header=BB7_1347 Depth=1
	v_readfirstlane_b32 s4, v44
	v_mov_b32_e32 v8, 0
	v_mov_b32_e32 v9, 0
	v_cmp_eq_u32_e64 s[4:5], s4, v44
	s_and_saveexec_b64 s[18:19], s[4:5]
	s_cbranch_execz .LBB7_1408
; %bb.1403:                             ;   in Loop: Header=BB7_1347 Depth=1
	global_load_dwordx2 v[26:27], v28, s[48:49] offset:24 glc
	s_waitcnt vmcnt(0)
	buffer_wbinvl1_vol
	global_load_dwordx2 v[8:9], v28, s[48:49] offset:40
	global_load_dwordx2 v[24:25], v28, s[48:49]
	s_waitcnt vmcnt(1)
	v_and_b32_e32 v8, v8, v26
	v_and_b32_e32 v9, v9, v27
	v_mul_lo_u32 v9, v9, 24
	v_mul_hi_u32 v29, v8, 24
	v_mul_lo_u32 v8, v8, 24
	v_add_u32_e32 v9, v29, v9
	s_waitcnt vmcnt(0)
	v_add_co_u32_e32 v8, vcc, v24, v8
	v_addc_co_u32_e32 v9, vcc, v25, v9, vcc
	global_load_dwordx2 v[24:25], v[8:9], off glc
	s_waitcnt vmcnt(0)
	global_atomic_cmpswap_x2 v[8:9], v28, v[24:27], s[48:49] offset:24 glc
	s_waitcnt vmcnt(0)
	buffer_wbinvl1_vol
	v_cmp_ne_u64_e32 vcc, v[8:9], v[26:27]
	s_and_saveexec_b64 s[20:21], vcc
	s_cbranch_execz .LBB7_1407
; %bb.1404:                             ;   in Loop: Header=BB7_1347 Depth=1
	s_mov_b64 s[22:23], 0
.LBB7_1405:                             ;   Parent Loop BB7_1347 Depth=1
                                        ; =>  This Inner Loop Header: Depth=2
	s_sleep 1
	global_load_dwordx2 v[24:25], v28, s[48:49] offset:40
	global_load_dwordx2 v[29:30], v28, s[48:49]
	v_mov_b32_e32 v27, v9
	v_mov_b32_e32 v26, v8
	s_waitcnt vmcnt(1)
	v_and_b32_e32 v8, v24, v26
	s_waitcnt vmcnt(0)
	v_mad_u64_u32 v[8:9], s[24:25], v8, 24, v[29:30]
	v_and_b32_e32 v24, v25, v27
	v_mad_u64_u32 v[24:25], s[24:25], v24, 24, v[9:10]
	v_mov_b32_e32 v9, v24
	global_load_dwordx2 v[24:25], v[8:9], off glc
	s_waitcnt vmcnt(0)
	global_atomic_cmpswap_x2 v[8:9], v28, v[24:27], s[48:49] offset:24 glc
	s_waitcnt vmcnt(0)
	buffer_wbinvl1_vol
	v_cmp_eq_u64_e32 vcc, v[8:9], v[26:27]
	s_or_b64 s[22:23], vcc, s[22:23]
	s_andn2_b64 exec, exec, s[22:23]
	s_cbranch_execnz .LBB7_1405
; %bb.1406:                             ;   in Loop: Header=BB7_1347 Depth=1
	s_or_b64 exec, exec, s[22:23]
.LBB7_1407:                             ;   in Loop: Header=BB7_1347 Depth=1
	s_or_b64 exec, exec, s[20:21]
.LBB7_1408:                             ;   in Loop: Header=BB7_1347 Depth=1
	s_or_b64 exec, exec, s[18:19]
	global_load_dwordx2 v[29:30], v28, s[48:49] offset:40
	global_load_dwordx4 v[24:27], v28, s[48:49]
	v_readfirstlane_b32 s18, v8
	v_readfirstlane_b32 s19, v9
	s_mov_b64 s[20:21], exec
	s_waitcnt vmcnt(1)
	v_readfirstlane_b32 s22, v29
	v_readfirstlane_b32 s23, v30
	s_and_b64 s[22:23], s[18:19], s[22:23]
	s_mul_i32 s15, s23, 24
	s_mul_hi_u32 s24, s22, 24
	s_mul_i32 s25, s22, 24
	s_add_i32 s15, s24, s15
	v_mov_b32_e32 v8, s15
	s_waitcnt vmcnt(0)
	v_add_co_u32_e32 v29, vcc, s25, v24
	v_addc_co_u32_e32 v30, vcc, v25, v8, vcc
	s_and_saveexec_b64 s[24:25], s[4:5]
	s_cbranch_execz .LBB7_1410
; %bb.1409:                             ;   in Loop: Header=BB7_1347 Depth=1
	v_mov_b32_e32 v8, s20
	v_mov_b32_e32 v9, s21
	global_store_dwordx4 v[29:30], v[8:11], off offset:8
.LBB7_1410:                             ;   in Loop: Header=BB7_1347 Depth=1
	s_or_b64 exec, exec, s[24:25]
	s_lshl_b64 s[20:21], s[22:23], 12
	v_mov_b32_e32 v8, s21
	v_add_co_u32_e32 v26, vcc, s20, v26
	v_addc_co_u32_e32 v32, vcc, v27, v8, vcc
	v_cmp_gt_u64_e64 vcc, s[10:11], 56
	v_or_b32_e32 v9, v0, v31
	s_lshl_b32 s15, s16, 2
	v_cndmask_b32_e32 v0, v9, v0, vcc
	s_add_i32 s15, s15, 28
	v_or_b32_e32 v8, 0, v1
	s_and_b32 s15, s15, 0x1e0
	v_and_b32_e32 v0, 0xffffff1f, v0
	v_cndmask_b32_e32 v1, v8, v1, vcc
	v_or_b32_e32 v0, s15, v0
	v_readfirstlane_b32 s20, v26
	v_readfirstlane_b32 s21, v32
	s_nop 4
	global_store_dwordx4 v40, v[0:3], s[20:21]
	global_store_dwordx4 v40, v[12:15], s[20:21] offset:16
	global_store_dwordx4 v40, v[16:19], s[20:21] offset:32
	;; [unrolled: 1-line block ×3, first 2 shown]
	s_and_saveexec_b64 s[20:21], s[4:5]
	s_cbranch_execz .LBB7_1418
; %bb.1411:                             ;   in Loop: Header=BB7_1347 Depth=1
	global_load_dwordx2 v[14:15], v28, s[48:49] offset:32 glc
	global_load_dwordx2 v[0:1], v28, s[48:49] offset:40
	v_mov_b32_e32 v12, s18
	v_mov_b32_e32 v13, s19
	s_waitcnt vmcnt(0)
	v_readfirstlane_b32 s22, v0
	v_readfirstlane_b32 s23, v1
	s_and_b64 s[22:23], s[22:23], s[18:19]
	s_mul_i32 s15, s23, 24
	s_mul_hi_u32 s23, s22, 24
	s_mul_i32 s22, s22, 24
	s_add_i32 s15, s23, s15
	v_mov_b32_e32 v0, s15
	v_add_co_u32_e32 v8, vcc, s22, v24
	v_addc_co_u32_e32 v9, vcc, v25, v0, vcc
	global_store_dwordx2 v[8:9], v[14:15], off
	s_waitcnt vmcnt(0)
	global_atomic_cmpswap_x2 v[2:3], v28, v[12:15], s[48:49] offset:32 glc
	s_waitcnt vmcnt(0)
	v_cmp_ne_u64_e32 vcc, v[2:3], v[14:15]
	s_and_saveexec_b64 s[22:23], vcc
	s_cbranch_execz .LBB7_1414
; %bb.1412:                             ;   in Loop: Header=BB7_1347 Depth=1
	s_mov_b64 s[24:25], 0
.LBB7_1413:                             ;   Parent Loop BB7_1347 Depth=1
                                        ; =>  This Inner Loop Header: Depth=2
	s_sleep 1
	global_store_dwordx2 v[8:9], v[2:3], off
	v_mov_b32_e32 v0, s18
	v_mov_b32_e32 v1, s19
	s_waitcnt vmcnt(0)
	global_atomic_cmpswap_x2 v[0:1], v28, v[0:3], s[48:49] offset:32 glc
	s_waitcnt vmcnt(0)
	v_cmp_eq_u64_e32 vcc, v[0:1], v[2:3]
	v_mov_b32_e32 v3, v1
	s_or_b64 s[24:25], vcc, s[24:25]
	v_mov_b32_e32 v2, v0
	s_andn2_b64 exec, exec, s[24:25]
	s_cbranch_execnz .LBB7_1413
.LBB7_1414:                             ;   in Loop: Header=BB7_1347 Depth=1
	s_or_b64 exec, exec, s[22:23]
	global_load_dwordx2 v[0:1], v28, s[48:49] offset:16
	s_mov_b64 s[24:25], exec
	v_mbcnt_lo_u32_b32 v2, s24, 0
	v_mbcnt_hi_u32_b32 v2, s25, v2
	v_cmp_eq_u32_e32 vcc, 0, v2
	s_and_saveexec_b64 s[22:23], vcc
	s_cbranch_execz .LBB7_1416
; %bb.1415:                             ;   in Loop: Header=BB7_1347 Depth=1
	s_bcnt1_i32_b64 s15, s[24:25]
	v_mov_b32_e32 v27, s15
	s_waitcnt vmcnt(0)
	global_atomic_add_x2 v[0:1], v[27:28], off offset:8
.LBB7_1416:                             ;   in Loop: Header=BB7_1347 Depth=1
	s_or_b64 exec, exec, s[22:23]
	s_waitcnt vmcnt(0)
	global_load_dwordx2 v[2:3], v[0:1], off offset:16
	s_waitcnt vmcnt(0)
	v_cmp_eq_u64_e32 vcc, 0, v[2:3]
	s_cbranch_vccnz .LBB7_1418
; %bb.1417:                             ;   in Loop: Header=BB7_1347 Depth=1
	global_load_dword v27, v[0:1], off offset:24
	s_waitcnt vmcnt(0)
	v_and_b32_e32 v0, 0xffffff, v27
	v_readfirstlane_b32 m0, v0
	global_store_dwordx2 v[2:3], v[27:28], off
	s_sendmsg sendmsg(MSG_INTERRUPT)
.LBB7_1418:                             ;   in Loop: Header=BB7_1347 Depth=1
	s_or_b64 exec, exec, s[20:21]
	v_add_co_u32_e32 v0, vcc, v26, v40
	v_addc_co_u32_e32 v1, vcc, 0, v32, vcc
	s_branch .LBB7_1422
.LBB7_1419:                             ;   in Loop: Header=BB7_1422 Depth=2
	s_or_b64 exec, exec, s[20:21]
	v_readfirstlane_b32 s15, v2
	s_cmp_eq_u32 s15, 0
	s_cbranch_scc1 .LBB7_1421
; %bb.1420:                             ;   in Loop: Header=BB7_1422 Depth=2
	s_sleep 1
	s_cbranch_execnz .LBB7_1422
	s_branch .LBB7_1424
.LBB7_1421:                             ;   in Loop: Header=BB7_1347 Depth=1
	s_branch .LBB7_1424
.LBB7_1422:                             ;   Parent Loop BB7_1347 Depth=1
                                        ; =>  This Inner Loop Header: Depth=2
	v_mov_b32_e32 v2, 1
	s_and_saveexec_b64 s[20:21], s[4:5]
	s_cbranch_execz .LBB7_1419
; %bb.1423:                             ;   in Loop: Header=BB7_1422 Depth=2
	global_load_dword v2, v[29:30], off offset:20 glc
	s_waitcnt vmcnt(0)
	buffer_wbinvl1_vol
	v_and_b32_e32 v2, 1, v2
	s_branch .LBB7_1419
.LBB7_1424:                             ;   in Loop: Header=BB7_1347 Depth=1
	global_load_dwordx4 v[0:3], v[0:1], off
	s_and_saveexec_b64 s[20:21], s[4:5]
	s_cbranch_execz .LBB7_1346
; %bb.1425:                             ;   in Loop: Header=BB7_1347 Depth=1
	global_load_dwordx2 v[2:3], v28, s[48:49] offset:40
	global_load_dwordx2 v[8:9], v28, s[48:49] offset:24 glc
	global_load_dwordx2 v[15:16], v28, s[48:49]
	v_mov_b32_e32 v13, s19
	s_waitcnt vmcnt(2)
	v_add_co_u32_e32 v14, vcc, 1, v2
	v_addc_co_u32_e32 v17, vcc, 0, v3, vcc
	v_add_co_u32_e32 v12, vcc, s18, v14
	v_addc_co_u32_e32 v13, vcc, v17, v13, vcc
	v_cmp_eq_u64_e32 vcc, 0, v[12:13]
	v_cndmask_b32_e32 v13, v13, v17, vcc
	v_cndmask_b32_e32 v12, v12, v14, vcc
	v_and_b32_e32 v3, v13, v3
	v_and_b32_e32 v2, v12, v2
	v_mul_lo_u32 v3, v3, 24
	v_mul_hi_u32 v17, v2, 24
	v_mul_lo_u32 v2, v2, 24
	s_waitcnt vmcnt(1)
	v_mov_b32_e32 v14, v8
	v_add_u32_e32 v3, v17, v3
	s_waitcnt vmcnt(0)
	v_add_co_u32_e32 v2, vcc, v15, v2
	v_addc_co_u32_e32 v3, vcc, v16, v3, vcc
	global_store_dwordx2 v[2:3], v[8:9], off
	v_mov_b32_e32 v15, v9
	s_waitcnt vmcnt(0)
	global_atomic_cmpswap_x2 v[14:15], v28, v[12:15], s[48:49] offset:24 glc
	s_waitcnt vmcnt(0)
	v_cmp_ne_u64_e32 vcc, v[14:15], v[8:9]
	s_and_b64 exec, exec, vcc
	s_cbranch_execz .LBB7_1346
; %bb.1426:                             ;   in Loop: Header=BB7_1347 Depth=1
	s_mov_b64 s[4:5], 0
.LBB7_1427:                             ;   Parent Loop BB7_1347 Depth=1
                                        ; =>  This Inner Loop Header: Depth=2
	s_sleep 1
	global_store_dwordx2 v[2:3], v[14:15], off
	s_waitcnt vmcnt(0)
	global_atomic_cmpswap_x2 v[8:9], v28, v[12:15], s[48:49] offset:24 glc
	s_waitcnt vmcnt(0)
	v_cmp_eq_u64_e32 vcc, v[8:9], v[14:15]
	v_mov_b32_e32 v15, v9
	s_or_b64 s[4:5], vcc, s[4:5]
	v_mov_b32_e32 v14, v8
	s_andn2_b64 exec, exec, s[4:5]
	s_cbranch_execnz .LBB7_1427
	s_branch .LBB7_1346
.LBB7_1428:
	s_branch .LBB7_1456
.LBB7_1429:
                                        ; implicit-def: $vgpr0_vgpr1
	s_cbranch_execz .LBB7_1456
; %bb.1430:
	v_readfirstlane_b32 s4, v44
	v_mov_b32_e32 v9, 0
	v_mov_b32_e32 v10, 0
	v_cmp_eq_u32_e64 s[4:5], s4, v44
	s_and_saveexec_b64 s[6:7], s[4:5]
	s_cbranch_execz .LBB7_1436
; %bb.1431:
	s_waitcnt vmcnt(0)
	v_mov_b32_e32 v0, 0
	global_load_dwordx2 v[11:12], v0, s[48:49] offset:24 glc
	s_waitcnt vmcnt(0)
	buffer_wbinvl1_vol
	global_load_dwordx2 v[1:2], v0, s[48:49] offset:40
	global_load_dwordx2 v[8:9], v0, s[48:49]
	s_waitcnt vmcnt(1)
	v_and_b32_e32 v1, v1, v11
	v_and_b32_e32 v2, v2, v12
	v_mul_lo_u32 v2, v2, 24
	v_mul_hi_u32 v3, v1, 24
	v_mul_lo_u32 v1, v1, 24
	v_add_u32_e32 v2, v3, v2
	s_waitcnt vmcnt(0)
	v_add_co_u32_e32 v1, vcc, v8, v1
	v_addc_co_u32_e32 v2, vcc, v9, v2, vcc
	global_load_dwordx2 v[9:10], v[1:2], off glc
	s_waitcnt vmcnt(0)
	global_atomic_cmpswap_x2 v[9:10], v0, v[9:12], s[48:49] offset:24 glc
	s_waitcnt vmcnt(0)
	buffer_wbinvl1_vol
	v_cmp_ne_u64_e32 vcc, v[9:10], v[11:12]
	s_and_saveexec_b64 s[10:11], vcc
	s_cbranch_execz .LBB7_1435
; %bb.1432:
	s_mov_b64 s[16:17], 0
.LBB7_1433:                             ; =>This Inner Loop Header: Depth=1
	s_sleep 1
	global_load_dwordx2 v[1:2], v0, s[48:49] offset:40
	global_load_dwordx2 v[13:14], v0, s[48:49]
	v_mov_b32_e32 v12, v10
	v_mov_b32_e32 v11, v9
	s_waitcnt vmcnt(1)
	v_and_b32_e32 v1, v1, v11
	s_waitcnt vmcnt(0)
	v_mad_u64_u32 v[8:9], s[18:19], v1, 24, v[13:14]
	v_and_b32_e32 v2, v2, v12
	v_mov_b32_e32 v1, v9
	v_mad_u64_u32 v[1:2], s[18:19], v2, 24, v[1:2]
	v_mov_b32_e32 v9, v1
	global_load_dwordx2 v[9:10], v[8:9], off glc
	s_waitcnt vmcnt(0)
	global_atomic_cmpswap_x2 v[9:10], v0, v[9:12], s[48:49] offset:24 glc
	s_waitcnt vmcnt(0)
	buffer_wbinvl1_vol
	v_cmp_eq_u64_e32 vcc, v[9:10], v[11:12]
	s_or_b64 s[16:17], vcc, s[16:17]
	s_andn2_b64 exec, exec, s[16:17]
	s_cbranch_execnz .LBB7_1433
; %bb.1434:
	s_or_b64 exec, exec, s[16:17]
.LBB7_1435:
	s_or_b64 exec, exec, s[10:11]
.LBB7_1436:
	s_or_b64 exec, exec, s[6:7]
	v_mov_b32_e32 v8, 0
	global_load_dwordx2 v[11:12], v8, s[48:49] offset:40
	global_load_dwordx4 v[0:3], v8, s[48:49]
	v_readfirstlane_b32 s6, v9
	v_readfirstlane_b32 s7, v10
	s_mov_b64 s[10:11], exec
	s_waitcnt vmcnt(1)
	v_readfirstlane_b32 s16, v11
	v_readfirstlane_b32 s17, v12
	s_and_b64 s[16:17], s[6:7], s[16:17]
	s_mul_i32 s15, s17, 24
	s_mul_hi_u32 s18, s16, 24
	s_mul_i32 s19, s16, 24
	s_add_i32 s15, s18, s15
	v_mov_b32_e32 v9, s15
	s_waitcnt vmcnt(0)
	v_add_co_u32_e32 v10, vcc, s19, v0
	v_addc_co_u32_e32 v11, vcc, v1, v9, vcc
	s_and_saveexec_b64 s[18:19], s[4:5]
	s_cbranch_execz .LBB7_1438
; %bb.1437:
	v_mov_b32_e32 v13, s11
	v_mov_b32_e32 v12, s10
	;; [unrolled: 1-line block ×4, first 2 shown]
	global_store_dwordx4 v[10:11], v[12:15], off offset:8
.LBB7_1438:
	s_or_b64 exec, exec, s[18:19]
	s_lshl_b64 s[10:11], s[16:17], 12
	v_mov_b32_e32 v9, s11
	v_add_co_u32_e32 v2, vcc, s10, v2
	v_addc_co_u32_e32 v3, vcc, v3, v9, vcc
	s_movk_i32 s10, 0xff1f
	v_and_or_b32 v6, v6, s10, 32
	s_mov_b32 s16, 0
	v_mov_b32_e32 v9, v8
	v_readfirstlane_b32 s10, v2
	v_readfirstlane_b32 s11, v3
	v_add_co_u32_e32 v12, vcc, v2, v40
	s_mov_b32 s17, s16
	s_mov_b32 s18, s16
	;; [unrolled: 1-line block ×3, first 2 shown]
	s_nop 0
	global_store_dwordx4 v40, v[6:9], s[10:11]
	v_addc_co_u32_e32 v13, vcc, 0, v3, vcc
	v_mov_b32_e32 v6, s16
	v_mov_b32_e32 v7, s17
	;; [unrolled: 1-line block ×4, first 2 shown]
	global_store_dwordx4 v40, v[6:9], s[10:11] offset:16
	global_store_dwordx4 v40, v[6:9], s[10:11] offset:32
	;; [unrolled: 1-line block ×3, first 2 shown]
	s_and_saveexec_b64 s[10:11], s[4:5]
	s_cbranch_execz .LBB7_1446
; %bb.1439:
	v_mov_b32_e32 v8, 0
	global_load_dwordx2 v[16:17], v8, s[48:49] offset:32 glc
	global_load_dwordx2 v[2:3], v8, s[48:49] offset:40
	v_mov_b32_e32 v14, s6
	v_mov_b32_e32 v15, s7
	s_waitcnt vmcnt(0)
	v_readfirstlane_b32 s16, v2
	v_readfirstlane_b32 s17, v3
	s_and_b64 s[16:17], s[16:17], s[6:7]
	s_mul_i32 s15, s17, 24
	s_mul_hi_u32 s17, s16, 24
	s_mul_i32 s16, s16, 24
	s_add_i32 s15, s17, s15
	v_mov_b32_e32 v2, s15
	v_add_co_u32_e32 v6, vcc, s16, v0
	v_addc_co_u32_e32 v7, vcc, v1, v2, vcc
	global_store_dwordx2 v[6:7], v[16:17], off
	s_waitcnt vmcnt(0)
	global_atomic_cmpswap_x2 v[2:3], v8, v[14:17], s[48:49] offset:32 glc
	s_waitcnt vmcnt(0)
	v_cmp_ne_u64_e32 vcc, v[2:3], v[16:17]
	s_and_saveexec_b64 s[16:17], vcc
	s_cbranch_execz .LBB7_1442
; %bb.1440:
	s_mov_b64 s[18:19], 0
.LBB7_1441:                             ; =>This Inner Loop Header: Depth=1
	s_sleep 1
	global_store_dwordx2 v[6:7], v[2:3], off
	v_mov_b32_e32 v0, s6
	v_mov_b32_e32 v1, s7
	s_waitcnt vmcnt(0)
	global_atomic_cmpswap_x2 v[0:1], v8, v[0:3], s[48:49] offset:32 glc
	s_waitcnt vmcnt(0)
	v_cmp_eq_u64_e32 vcc, v[0:1], v[2:3]
	v_mov_b32_e32 v3, v1
	s_or_b64 s[18:19], vcc, s[18:19]
	v_mov_b32_e32 v2, v0
	s_andn2_b64 exec, exec, s[18:19]
	s_cbranch_execnz .LBB7_1441
.LBB7_1442:
	s_or_b64 exec, exec, s[16:17]
	v_mov_b32_e32 v3, 0
	global_load_dwordx2 v[0:1], v3, s[48:49] offset:16
	s_mov_b64 s[16:17], exec
	v_mbcnt_lo_u32_b32 v2, s16, 0
	v_mbcnt_hi_u32_b32 v2, s17, v2
	v_cmp_eq_u32_e32 vcc, 0, v2
	s_and_saveexec_b64 s[18:19], vcc
	s_cbranch_execz .LBB7_1444
; %bb.1443:
	s_bcnt1_i32_b64 s15, s[16:17]
	v_mov_b32_e32 v2, s15
	s_waitcnt vmcnt(0)
	global_atomic_add_x2 v[0:1], v[2:3], off offset:8
.LBB7_1444:
	s_or_b64 exec, exec, s[18:19]
	s_waitcnt vmcnt(0)
	global_load_dwordx2 v[2:3], v[0:1], off offset:16
	s_waitcnt vmcnt(0)
	v_cmp_eq_u64_e32 vcc, 0, v[2:3]
	s_cbranch_vccnz .LBB7_1446
; %bb.1445:
	global_load_dword v0, v[0:1], off offset:24
	v_mov_b32_e32 v1, 0
	s_waitcnt vmcnt(0)
	global_store_dwordx2 v[2:3], v[0:1], off
	v_and_b32_e32 v0, 0xffffff, v0
	v_readfirstlane_b32 m0, v0
	s_sendmsg sendmsg(MSG_INTERRUPT)
.LBB7_1446:
	s_or_b64 exec, exec, s[10:11]
	s_branch .LBB7_1450
.LBB7_1447:                             ;   in Loop: Header=BB7_1450 Depth=1
	s_or_b64 exec, exec, s[10:11]
	v_readfirstlane_b32 s10, v0
	s_cmp_eq_u32 s10, 0
	s_cbranch_scc1 .LBB7_1449
; %bb.1448:                             ;   in Loop: Header=BB7_1450 Depth=1
	s_sleep 1
	s_cbranch_execnz .LBB7_1450
	s_branch .LBB7_1452
.LBB7_1449:
	s_branch .LBB7_1452
.LBB7_1450:                             ; =>This Inner Loop Header: Depth=1
	v_mov_b32_e32 v0, 1
	s_and_saveexec_b64 s[10:11], s[4:5]
	s_cbranch_execz .LBB7_1447
; %bb.1451:                             ;   in Loop: Header=BB7_1450 Depth=1
	global_load_dword v0, v[10:11], off offset:20 glc
	s_waitcnt vmcnt(0)
	buffer_wbinvl1_vol
	v_and_b32_e32 v0, 1, v0
	s_branch .LBB7_1447
.LBB7_1452:
	global_load_dwordx2 v[0:1], v[12:13], off
	s_and_saveexec_b64 s[10:11], s[4:5]
	s_cbranch_execz .LBB7_1455
; %bb.1453:
	v_mov_b32_e32 v10, 0
	global_load_dwordx2 v[2:3], v10, s[48:49] offset:40
	global_load_dwordx2 v[11:12], v10, s[48:49] offset:24 glc
	global_load_dwordx2 v[13:14], v10, s[48:49]
	v_mov_b32_e32 v7, s7
	s_mov_b64 s[4:5], 0
	s_waitcnt vmcnt(2)
	v_add_co_u32_e32 v8, vcc, 1, v2
	v_addc_co_u32_e32 v9, vcc, 0, v3, vcc
	v_add_co_u32_e32 v6, vcc, s6, v8
	v_addc_co_u32_e32 v7, vcc, v9, v7, vcc
	v_cmp_eq_u64_e32 vcc, 0, v[6:7]
	v_cndmask_b32_e32 v7, v7, v9, vcc
	v_cndmask_b32_e32 v6, v6, v8, vcc
	v_and_b32_e32 v3, v7, v3
	v_and_b32_e32 v2, v6, v2
	v_mul_lo_u32 v3, v3, 24
	v_mul_hi_u32 v9, v2, 24
	v_mul_lo_u32 v2, v2, 24
	s_waitcnt vmcnt(1)
	v_mov_b32_e32 v8, v11
	v_add_u32_e32 v3, v9, v3
	s_waitcnt vmcnt(0)
	v_add_co_u32_e32 v2, vcc, v13, v2
	v_addc_co_u32_e32 v3, vcc, v14, v3, vcc
	global_store_dwordx2 v[2:3], v[11:12], off
	v_mov_b32_e32 v9, v12
	s_waitcnt vmcnt(0)
	global_atomic_cmpswap_x2 v[8:9], v10, v[6:9], s[48:49] offset:24 glc
	s_waitcnt vmcnt(0)
	v_cmp_ne_u64_e32 vcc, v[8:9], v[11:12]
	s_and_b64 exec, exec, vcc
	s_cbranch_execz .LBB7_1455
.LBB7_1454:                             ; =>This Inner Loop Header: Depth=1
	s_sleep 1
	global_store_dwordx2 v[2:3], v[8:9], off
	s_waitcnt vmcnt(0)
	global_atomic_cmpswap_x2 v[11:12], v10, v[6:9], s[48:49] offset:24 glc
	s_waitcnt vmcnt(0)
	v_cmp_eq_u64_e32 vcc, v[11:12], v[8:9]
	v_mov_b32_e32 v8, v11
	s_or_b64 s[4:5], vcc, s[4:5]
	v_mov_b32_e32 v9, v12
	s_andn2_b64 exec, exec, s[4:5]
	s_cbranch_execnz .LBB7_1454
.LBB7_1455:
	s_or_b64 exec, exec, s[10:11]
.LBB7_1456:
	s_getpc_b64 s[6:7]
	s_add_u32 s6, s6, .str.2@rel32@lo+4
	s_addc_u32 s7, s7, .str.2@rel32@hi+12
	s_cmp_lg_u64 s[6:7], 0
	s_cbranch_scc0 .LBB7_1541
; %bb.1457:
	s_waitcnt vmcnt(0)
	v_and_b32_e32 v10, -3, v0
	v_mov_b32_e32 v11, v1
	s_mov_b64 s[10:11], 13
	v_mov_b32_e32 v3, 0
	v_mov_b32_e32 v8, 2
	;; [unrolled: 1-line block ×3, first 2 shown]
	s_branch .LBB7_1459
.LBB7_1458:                             ;   in Loop: Header=BB7_1459 Depth=1
	s_or_b64 exec, exec, s[20:21]
	s_sub_u32 s10, s10, s16
	s_subb_u32 s11, s11, s17
	s_add_u32 s6, s6, s16
	s_addc_u32 s7, s7, s17
	s_cmp_lg_u64 s[10:11], 0
	s_cbranch_scc0 .LBB7_1540
.LBB7_1459:                             ; =>This Loop Header: Depth=1
                                        ;     Child Loop BB7_1462 Depth 2
                                        ;     Child Loop BB7_1469 Depth 2
	;; [unrolled: 1-line block ×11, first 2 shown]
	v_cmp_lt_u64_e64 s[4:5], s[10:11], 56
	v_cmp_gt_u64_e64 s[18:19], s[10:11], 7
	s_and_b64 s[4:5], s[4:5], exec
	s_cselect_b32 s17, s11, 0
	s_cselect_b32 s16, s10, 56
	s_and_b64 vcc, exec, s[18:19]
	s_cbranch_vccnz .LBB7_1464
; %bb.1460:                             ;   in Loop: Header=BB7_1459 Depth=1
	s_waitcnt vmcnt(0)
	v_mov_b32_e32 v12, 0
	s_cmp_eq_u64 s[10:11], 0
	v_mov_b32_e32 v13, 0
	s_mov_b64 s[4:5], 0
	s_cbranch_scc1 .LBB7_1463
; %bb.1461:                             ;   in Loop: Header=BB7_1459 Depth=1
	v_mov_b32_e32 v12, 0
	s_lshl_b64 s[18:19], s[16:17], 3
	s_mov_b64 s[20:21], 0
	v_mov_b32_e32 v13, 0
	s_mov_b64 s[22:23], s[6:7]
.LBB7_1462:                             ;   Parent Loop BB7_1459 Depth=1
                                        ; =>  This Inner Loop Header: Depth=2
	global_load_ubyte v2, v3, s[22:23]
	s_waitcnt vmcnt(0)
	v_and_b32_e32 v2, 0xffff, v2
	v_lshlrev_b64 v[6:7], s20, v[2:3]
	s_add_u32 s20, s20, 8
	s_addc_u32 s21, s21, 0
	s_add_u32 s22, s22, 1
	s_addc_u32 s23, s23, 0
	v_or_b32_e32 v12, v6, v12
	s_cmp_lg_u32 s18, s20
	v_or_b32_e32 v13, v7, v13
	s_cbranch_scc1 .LBB7_1462
.LBB7_1463:                             ;   in Loop: Header=BB7_1459 Depth=1
	s_mov_b32 s15, 0
	s_andn2_b64 vcc, exec, s[4:5]
	s_mov_b64 s[4:5], s[6:7]
	s_cbranch_vccz .LBB7_1465
	s_branch .LBB7_1466
.LBB7_1464:                             ;   in Loop: Header=BB7_1459 Depth=1
                                        ; implicit-def: $sgpr15
	s_mov_b64 s[4:5], s[6:7]
.LBB7_1465:                             ;   in Loop: Header=BB7_1459 Depth=1
	global_load_dwordx2 v[12:13], v3, s[6:7]
	s_add_i32 s15, s16, -8
	s_add_u32 s4, s6, 8
	s_addc_u32 s5, s7, 0
.LBB7_1466:                             ;   in Loop: Header=BB7_1459 Depth=1
	s_cmp_gt_u32 s15, 7
	s_cbranch_scc1 .LBB7_1470
; %bb.1467:                             ;   in Loop: Header=BB7_1459 Depth=1
	s_cmp_eq_u32 s15, 0
	s_cbranch_scc1 .LBB7_1471
; %bb.1468:                             ;   in Loop: Header=BB7_1459 Depth=1
	v_mov_b32_e32 v14, 0
	s_mov_b64 s[18:19], 0
	v_mov_b32_e32 v15, 0
	s_mov_b64 s[20:21], 0
.LBB7_1469:                             ;   Parent Loop BB7_1459 Depth=1
                                        ; =>  This Inner Loop Header: Depth=2
	s_add_u32 s22, s4, s20
	s_addc_u32 s23, s5, s21
	global_load_ubyte v2, v3, s[22:23]
	s_add_u32 s20, s20, 1
	s_addc_u32 s21, s21, 0
	s_waitcnt vmcnt(0)
	v_and_b32_e32 v2, 0xffff, v2
	v_lshlrev_b64 v[6:7], s18, v[2:3]
	s_add_u32 s18, s18, 8
	s_addc_u32 s19, s19, 0
	v_or_b32_e32 v14, v6, v14
	s_cmp_lg_u32 s15, s20
	v_or_b32_e32 v15, v7, v15
	s_cbranch_scc1 .LBB7_1469
	s_branch .LBB7_1472
.LBB7_1470:                             ;   in Loop: Header=BB7_1459 Depth=1
                                        ; implicit-def: $vgpr14_vgpr15
                                        ; implicit-def: $sgpr22
	s_branch .LBB7_1473
.LBB7_1471:                             ;   in Loop: Header=BB7_1459 Depth=1
	v_mov_b32_e32 v14, 0
	v_mov_b32_e32 v15, 0
.LBB7_1472:                             ;   in Loop: Header=BB7_1459 Depth=1
	s_mov_b32 s22, 0
	s_cbranch_execnz .LBB7_1474
.LBB7_1473:                             ;   in Loop: Header=BB7_1459 Depth=1
	global_load_dwordx2 v[14:15], v3, s[4:5]
	s_add_i32 s22, s15, -8
	s_add_u32 s4, s4, 8
	s_addc_u32 s5, s5, 0
.LBB7_1474:                             ;   in Loop: Header=BB7_1459 Depth=1
	s_cmp_gt_u32 s22, 7
	s_cbranch_scc1 .LBB7_1478
; %bb.1475:                             ;   in Loop: Header=BB7_1459 Depth=1
	s_cmp_eq_u32 s22, 0
	s_cbranch_scc1 .LBB7_1479
; %bb.1476:                             ;   in Loop: Header=BB7_1459 Depth=1
	v_mov_b32_e32 v16, 0
	s_mov_b64 s[18:19], 0
	v_mov_b32_e32 v17, 0
	s_mov_b64 s[20:21], 0
.LBB7_1477:                             ;   Parent Loop BB7_1459 Depth=1
                                        ; =>  This Inner Loop Header: Depth=2
	s_add_u32 s24, s4, s20
	s_addc_u32 s25, s5, s21
	global_load_ubyte v2, v3, s[24:25]
	s_add_u32 s20, s20, 1
	s_addc_u32 s21, s21, 0
	s_waitcnt vmcnt(0)
	v_and_b32_e32 v2, 0xffff, v2
	v_lshlrev_b64 v[6:7], s18, v[2:3]
	s_add_u32 s18, s18, 8
	s_addc_u32 s19, s19, 0
	v_or_b32_e32 v16, v6, v16
	s_cmp_lg_u32 s22, s20
	v_or_b32_e32 v17, v7, v17
	s_cbranch_scc1 .LBB7_1477
	s_branch .LBB7_1480
.LBB7_1478:                             ;   in Loop: Header=BB7_1459 Depth=1
                                        ; implicit-def: $sgpr15
	s_branch .LBB7_1481
.LBB7_1479:                             ;   in Loop: Header=BB7_1459 Depth=1
	v_mov_b32_e32 v16, 0
	v_mov_b32_e32 v17, 0
.LBB7_1480:                             ;   in Loop: Header=BB7_1459 Depth=1
	s_mov_b32 s15, 0
	s_cbranch_execnz .LBB7_1482
.LBB7_1481:                             ;   in Loop: Header=BB7_1459 Depth=1
	global_load_dwordx2 v[16:17], v3, s[4:5]
	s_add_i32 s15, s22, -8
	s_add_u32 s4, s4, 8
	s_addc_u32 s5, s5, 0
.LBB7_1482:                             ;   in Loop: Header=BB7_1459 Depth=1
	s_cmp_gt_u32 s15, 7
	s_cbranch_scc1 .LBB7_1486
; %bb.1483:                             ;   in Loop: Header=BB7_1459 Depth=1
	s_cmp_eq_u32 s15, 0
	s_cbranch_scc1 .LBB7_1487
; %bb.1484:                             ;   in Loop: Header=BB7_1459 Depth=1
	v_mov_b32_e32 v18, 0
	s_mov_b64 s[18:19], 0
	v_mov_b32_e32 v19, 0
	s_mov_b64 s[20:21], 0
.LBB7_1485:                             ;   Parent Loop BB7_1459 Depth=1
                                        ; =>  This Inner Loop Header: Depth=2
	s_add_u32 s22, s4, s20
	s_addc_u32 s23, s5, s21
	global_load_ubyte v2, v3, s[22:23]
	s_add_u32 s20, s20, 1
	s_addc_u32 s21, s21, 0
	s_waitcnt vmcnt(0)
	v_and_b32_e32 v2, 0xffff, v2
	v_lshlrev_b64 v[6:7], s18, v[2:3]
	s_add_u32 s18, s18, 8
	s_addc_u32 s19, s19, 0
	v_or_b32_e32 v18, v6, v18
	s_cmp_lg_u32 s15, s20
	v_or_b32_e32 v19, v7, v19
	s_cbranch_scc1 .LBB7_1485
	s_branch .LBB7_1488
.LBB7_1486:                             ;   in Loop: Header=BB7_1459 Depth=1
                                        ; implicit-def: $vgpr18_vgpr19
                                        ; implicit-def: $sgpr22
	s_branch .LBB7_1489
.LBB7_1487:                             ;   in Loop: Header=BB7_1459 Depth=1
	v_mov_b32_e32 v18, 0
	v_mov_b32_e32 v19, 0
.LBB7_1488:                             ;   in Loop: Header=BB7_1459 Depth=1
	s_mov_b32 s22, 0
	s_cbranch_execnz .LBB7_1490
.LBB7_1489:                             ;   in Loop: Header=BB7_1459 Depth=1
	global_load_dwordx2 v[18:19], v3, s[4:5]
	s_add_i32 s22, s15, -8
	s_add_u32 s4, s4, 8
	s_addc_u32 s5, s5, 0
.LBB7_1490:                             ;   in Loop: Header=BB7_1459 Depth=1
	s_cmp_gt_u32 s22, 7
	s_cbranch_scc1 .LBB7_1494
; %bb.1491:                             ;   in Loop: Header=BB7_1459 Depth=1
	s_cmp_eq_u32 s22, 0
	s_cbranch_scc1 .LBB7_1495
; %bb.1492:                             ;   in Loop: Header=BB7_1459 Depth=1
	v_mov_b32_e32 v20, 0
	s_mov_b64 s[18:19], 0
	v_mov_b32_e32 v21, 0
	s_mov_b64 s[20:21], 0
.LBB7_1493:                             ;   Parent Loop BB7_1459 Depth=1
                                        ; =>  This Inner Loop Header: Depth=2
	s_add_u32 s24, s4, s20
	s_addc_u32 s25, s5, s21
	global_load_ubyte v2, v3, s[24:25]
	s_add_u32 s20, s20, 1
	s_addc_u32 s21, s21, 0
	s_waitcnt vmcnt(0)
	v_and_b32_e32 v2, 0xffff, v2
	v_lshlrev_b64 v[6:7], s18, v[2:3]
	s_add_u32 s18, s18, 8
	s_addc_u32 s19, s19, 0
	v_or_b32_e32 v20, v6, v20
	s_cmp_lg_u32 s22, s20
	v_or_b32_e32 v21, v7, v21
	s_cbranch_scc1 .LBB7_1493
	s_branch .LBB7_1496
.LBB7_1494:                             ;   in Loop: Header=BB7_1459 Depth=1
                                        ; implicit-def: $sgpr15
	s_branch .LBB7_1497
.LBB7_1495:                             ;   in Loop: Header=BB7_1459 Depth=1
	v_mov_b32_e32 v20, 0
	v_mov_b32_e32 v21, 0
.LBB7_1496:                             ;   in Loop: Header=BB7_1459 Depth=1
	s_mov_b32 s15, 0
	s_cbranch_execnz .LBB7_1498
.LBB7_1497:                             ;   in Loop: Header=BB7_1459 Depth=1
	global_load_dwordx2 v[20:21], v3, s[4:5]
	s_add_i32 s15, s22, -8
	s_add_u32 s4, s4, 8
	s_addc_u32 s5, s5, 0
.LBB7_1498:                             ;   in Loop: Header=BB7_1459 Depth=1
	s_cmp_gt_u32 s15, 7
	s_cbranch_scc1 .LBB7_1502
; %bb.1499:                             ;   in Loop: Header=BB7_1459 Depth=1
	s_cmp_eq_u32 s15, 0
	s_cbranch_scc1 .LBB7_1503
; %bb.1500:                             ;   in Loop: Header=BB7_1459 Depth=1
	v_mov_b32_e32 v22, 0
	s_mov_b64 s[18:19], 0
	v_mov_b32_e32 v23, 0
	s_mov_b64 s[20:21], 0
.LBB7_1501:                             ;   Parent Loop BB7_1459 Depth=1
                                        ; =>  This Inner Loop Header: Depth=2
	s_add_u32 s22, s4, s20
	s_addc_u32 s23, s5, s21
	global_load_ubyte v2, v3, s[22:23]
	s_add_u32 s20, s20, 1
	s_addc_u32 s21, s21, 0
	s_waitcnt vmcnt(0)
	v_and_b32_e32 v2, 0xffff, v2
	v_lshlrev_b64 v[6:7], s18, v[2:3]
	s_add_u32 s18, s18, 8
	s_addc_u32 s19, s19, 0
	v_or_b32_e32 v22, v6, v22
	s_cmp_lg_u32 s15, s20
	v_or_b32_e32 v23, v7, v23
	s_cbranch_scc1 .LBB7_1501
	s_branch .LBB7_1504
.LBB7_1502:                             ;   in Loop: Header=BB7_1459 Depth=1
                                        ; implicit-def: $vgpr22_vgpr23
                                        ; implicit-def: $sgpr22
	s_branch .LBB7_1505
.LBB7_1503:                             ;   in Loop: Header=BB7_1459 Depth=1
	v_mov_b32_e32 v22, 0
	v_mov_b32_e32 v23, 0
.LBB7_1504:                             ;   in Loop: Header=BB7_1459 Depth=1
	s_mov_b32 s22, 0
	s_cbranch_execnz .LBB7_1506
.LBB7_1505:                             ;   in Loop: Header=BB7_1459 Depth=1
	global_load_dwordx2 v[22:23], v3, s[4:5]
	s_add_i32 s22, s15, -8
	s_add_u32 s4, s4, 8
	s_addc_u32 s5, s5, 0
.LBB7_1506:                             ;   in Loop: Header=BB7_1459 Depth=1
	s_cmp_gt_u32 s22, 7
	s_cbranch_scc1 .LBB7_1510
; %bb.1507:                             ;   in Loop: Header=BB7_1459 Depth=1
	s_cmp_eq_u32 s22, 0
	s_cbranch_scc1 .LBB7_1511
; %bb.1508:                             ;   in Loop: Header=BB7_1459 Depth=1
	v_mov_b32_e32 v24, 0
	s_mov_b64 s[18:19], 0
	v_mov_b32_e32 v25, 0
	s_mov_b64 s[20:21], s[4:5]
.LBB7_1509:                             ;   Parent Loop BB7_1459 Depth=1
                                        ; =>  This Inner Loop Header: Depth=2
	global_load_ubyte v2, v3, s[20:21]
	s_add_i32 s22, s22, -1
	s_waitcnt vmcnt(0)
	v_and_b32_e32 v2, 0xffff, v2
	v_lshlrev_b64 v[6:7], s18, v[2:3]
	s_add_u32 s18, s18, 8
	s_addc_u32 s19, s19, 0
	s_add_u32 s20, s20, 1
	s_addc_u32 s21, s21, 0
	v_or_b32_e32 v24, v6, v24
	s_cmp_lg_u32 s22, 0
	v_or_b32_e32 v25, v7, v25
	s_cbranch_scc1 .LBB7_1509
	s_branch .LBB7_1512
.LBB7_1510:                             ;   in Loop: Header=BB7_1459 Depth=1
	s_branch .LBB7_1513
.LBB7_1511:                             ;   in Loop: Header=BB7_1459 Depth=1
	v_mov_b32_e32 v24, 0
	v_mov_b32_e32 v25, 0
.LBB7_1512:                             ;   in Loop: Header=BB7_1459 Depth=1
	s_cbranch_execnz .LBB7_1514
.LBB7_1513:                             ;   in Loop: Header=BB7_1459 Depth=1
	global_load_dwordx2 v[24:25], v3, s[4:5]
.LBB7_1514:                             ;   in Loop: Header=BB7_1459 Depth=1
	v_readfirstlane_b32 s4, v44
	v_mov_b32_e32 v6, 0
	v_mov_b32_e32 v7, 0
	v_cmp_eq_u32_e64 s[4:5], s4, v44
	s_and_saveexec_b64 s[18:19], s[4:5]
	s_cbranch_execz .LBB7_1520
; %bb.1515:                             ;   in Loop: Header=BB7_1459 Depth=1
	global_load_dwordx2 v[28:29], v3, s[48:49] offset:24 glc
	s_waitcnt vmcnt(0)
	buffer_wbinvl1_vol
	global_load_dwordx2 v[6:7], v3, s[48:49] offset:40
	global_load_dwordx2 v[26:27], v3, s[48:49]
	s_waitcnt vmcnt(1)
	v_and_b32_e32 v2, v6, v28
	v_and_b32_e32 v6, v7, v29
	v_mul_lo_u32 v6, v6, 24
	v_mul_hi_u32 v7, v2, 24
	v_mul_lo_u32 v2, v2, 24
	v_add_u32_e32 v7, v7, v6
	s_waitcnt vmcnt(0)
	v_add_co_u32_e32 v6, vcc, v26, v2
	v_addc_co_u32_e32 v7, vcc, v27, v7, vcc
	global_load_dwordx2 v[26:27], v[6:7], off glc
	s_waitcnt vmcnt(0)
	global_atomic_cmpswap_x2 v[6:7], v3, v[26:29], s[48:49] offset:24 glc
	s_waitcnt vmcnt(0)
	buffer_wbinvl1_vol
	v_cmp_ne_u64_e32 vcc, v[6:7], v[28:29]
	s_and_saveexec_b64 s[20:21], vcc
	s_cbranch_execz .LBB7_1519
; %bb.1516:                             ;   in Loop: Header=BB7_1459 Depth=1
	s_mov_b64 s[22:23], 0
.LBB7_1517:                             ;   Parent Loop BB7_1459 Depth=1
                                        ; =>  This Inner Loop Header: Depth=2
	s_sleep 1
	global_load_dwordx2 v[26:27], v3, s[48:49] offset:40
	global_load_dwordx2 v[30:31], v3, s[48:49]
	v_mov_b32_e32 v29, v7
	v_mov_b32_e32 v28, v6
	s_waitcnt vmcnt(1)
	v_and_b32_e32 v2, v26, v28
	s_waitcnt vmcnt(0)
	v_mad_u64_u32 v[6:7], s[24:25], v2, 24, v[30:31]
	v_and_b32_e32 v26, v27, v29
	v_mov_b32_e32 v2, v7
	v_mad_u64_u32 v[26:27], s[24:25], v26, 24, v[2:3]
	v_mov_b32_e32 v7, v26
	global_load_dwordx2 v[26:27], v[6:7], off glc
	s_waitcnt vmcnt(0)
	global_atomic_cmpswap_x2 v[6:7], v3, v[26:29], s[48:49] offset:24 glc
	s_waitcnt vmcnt(0)
	buffer_wbinvl1_vol
	v_cmp_eq_u64_e32 vcc, v[6:7], v[28:29]
	s_or_b64 s[22:23], vcc, s[22:23]
	s_andn2_b64 exec, exec, s[22:23]
	s_cbranch_execnz .LBB7_1517
; %bb.1518:                             ;   in Loop: Header=BB7_1459 Depth=1
	s_or_b64 exec, exec, s[22:23]
.LBB7_1519:                             ;   in Loop: Header=BB7_1459 Depth=1
	s_or_b64 exec, exec, s[20:21]
.LBB7_1520:                             ;   in Loop: Header=BB7_1459 Depth=1
	s_or_b64 exec, exec, s[18:19]
	global_load_dwordx2 v[30:31], v3, s[48:49] offset:40
	global_load_dwordx4 v[26:29], v3, s[48:49]
	v_readfirstlane_b32 s18, v6
	v_readfirstlane_b32 s19, v7
	s_mov_b64 s[20:21], exec
	s_waitcnt vmcnt(1)
	v_readfirstlane_b32 s22, v30
	v_readfirstlane_b32 s23, v31
	s_and_b64 s[22:23], s[18:19], s[22:23]
	s_mul_i32 s15, s23, 24
	s_mul_hi_u32 s24, s22, 24
	s_mul_i32 s25, s22, 24
	s_add_i32 s15, s24, s15
	v_mov_b32_e32 v2, s15
	s_waitcnt vmcnt(0)
	v_add_co_u32_e32 v30, vcc, s25, v26
	v_addc_co_u32_e32 v31, vcc, v27, v2, vcc
	s_and_saveexec_b64 s[24:25], s[4:5]
	s_cbranch_execz .LBB7_1522
; %bb.1521:                             ;   in Loop: Header=BB7_1459 Depth=1
	v_mov_b32_e32 v6, s20
	v_mov_b32_e32 v7, s21
	global_store_dwordx4 v[30:31], v[6:9], off offset:8
.LBB7_1522:                             ;   in Loop: Header=BB7_1459 Depth=1
	s_or_b64 exec, exec, s[24:25]
	s_lshl_b64 s[20:21], s[22:23], 12
	v_mov_b32_e32 v2, s21
	v_add_co_u32_e32 v28, vcc, s20, v28
	v_addc_co_u32_e32 v29, vcc, v29, v2, vcc
	v_cmp_gt_u64_e64 vcc, s[10:11], 56
	v_or_b32_e32 v2, 2, v10
	s_lshl_b32 s15, s16, 2
	v_cndmask_b32_e32 v2, v2, v10, vcc
	s_add_i32 s15, s15, 28
	s_and_b32 s15, s15, 0x1e0
	v_and_b32_e32 v2, 0xffffff1f, v2
	v_or_b32_e32 v10, s15, v2
	v_readfirstlane_b32 s20, v28
	v_readfirstlane_b32 s21, v29
	s_nop 4
	global_store_dwordx4 v40, v[10:13], s[20:21]
	global_store_dwordx4 v40, v[14:17], s[20:21] offset:16
	global_store_dwordx4 v40, v[18:21], s[20:21] offset:32
	;; [unrolled: 1-line block ×3, first 2 shown]
	s_and_saveexec_b64 s[20:21], s[4:5]
	s_cbranch_execz .LBB7_1530
; %bb.1523:                             ;   in Loop: Header=BB7_1459 Depth=1
	global_load_dwordx2 v[14:15], v3, s[48:49] offset:32 glc
	global_load_dwordx2 v[6:7], v3, s[48:49] offset:40
	v_mov_b32_e32 v12, s18
	v_mov_b32_e32 v13, s19
	s_waitcnt vmcnt(0)
	v_readfirstlane_b32 s22, v6
	v_readfirstlane_b32 s23, v7
	s_and_b64 s[22:23], s[22:23], s[18:19]
	s_mul_i32 s15, s23, 24
	s_mul_hi_u32 s23, s22, 24
	s_mul_i32 s22, s22, 24
	s_add_i32 s15, s23, s15
	v_mov_b32_e32 v2, s15
	v_add_co_u32_e32 v6, vcc, s22, v26
	v_addc_co_u32_e32 v7, vcc, v27, v2, vcc
	global_store_dwordx2 v[6:7], v[14:15], off
	s_waitcnt vmcnt(0)
	global_atomic_cmpswap_x2 v[12:13], v3, v[12:15], s[48:49] offset:32 glc
	s_waitcnt vmcnt(0)
	v_cmp_ne_u64_e32 vcc, v[12:13], v[14:15]
	s_and_saveexec_b64 s[22:23], vcc
	s_cbranch_execz .LBB7_1526
; %bb.1524:                             ;   in Loop: Header=BB7_1459 Depth=1
	s_mov_b64 s[24:25], 0
.LBB7_1525:                             ;   Parent Loop BB7_1459 Depth=1
                                        ; =>  This Inner Loop Header: Depth=2
	s_sleep 1
	global_store_dwordx2 v[6:7], v[12:13], off
	v_mov_b32_e32 v10, s18
	v_mov_b32_e32 v11, s19
	s_waitcnt vmcnt(0)
	global_atomic_cmpswap_x2 v[10:11], v3, v[10:13], s[48:49] offset:32 glc
	s_waitcnt vmcnt(0)
	v_cmp_eq_u64_e32 vcc, v[10:11], v[12:13]
	v_mov_b32_e32 v13, v11
	s_or_b64 s[24:25], vcc, s[24:25]
	v_mov_b32_e32 v12, v10
	s_andn2_b64 exec, exec, s[24:25]
	s_cbranch_execnz .LBB7_1525
.LBB7_1526:                             ;   in Loop: Header=BB7_1459 Depth=1
	s_or_b64 exec, exec, s[22:23]
	global_load_dwordx2 v[6:7], v3, s[48:49] offset:16
	s_mov_b64 s[24:25], exec
	v_mbcnt_lo_u32_b32 v2, s24, 0
	v_mbcnt_hi_u32_b32 v2, s25, v2
	v_cmp_eq_u32_e32 vcc, 0, v2
	s_and_saveexec_b64 s[22:23], vcc
	s_cbranch_execz .LBB7_1528
; %bb.1527:                             ;   in Loop: Header=BB7_1459 Depth=1
	s_bcnt1_i32_b64 s15, s[24:25]
	v_mov_b32_e32 v2, s15
	s_waitcnt vmcnt(0)
	global_atomic_add_x2 v[6:7], v[2:3], off offset:8
.LBB7_1528:                             ;   in Loop: Header=BB7_1459 Depth=1
	s_or_b64 exec, exec, s[22:23]
	s_waitcnt vmcnt(0)
	global_load_dwordx2 v[10:11], v[6:7], off offset:16
	s_waitcnt vmcnt(0)
	v_cmp_eq_u64_e32 vcc, 0, v[10:11]
	s_cbranch_vccnz .LBB7_1530
; %bb.1529:                             ;   in Loop: Header=BB7_1459 Depth=1
	global_load_dword v2, v[6:7], off offset:24
	s_waitcnt vmcnt(0)
	global_store_dwordx2 v[10:11], v[2:3], off
	v_and_b32_e32 v2, 0xffffff, v2
	v_readfirstlane_b32 m0, v2
	s_sendmsg sendmsg(MSG_INTERRUPT)
.LBB7_1530:                             ;   in Loop: Header=BB7_1459 Depth=1
	s_or_b64 exec, exec, s[20:21]
	v_add_co_u32_e32 v6, vcc, v28, v40
	v_addc_co_u32_e32 v7, vcc, 0, v29, vcc
	s_branch .LBB7_1534
.LBB7_1531:                             ;   in Loop: Header=BB7_1534 Depth=2
	s_or_b64 exec, exec, s[20:21]
	v_readfirstlane_b32 s15, v2
	s_cmp_eq_u32 s15, 0
	s_cbranch_scc1 .LBB7_1533
; %bb.1532:                             ;   in Loop: Header=BB7_1534 Depth=2
	s_sleep 1
	s_cbranch_execnz .LBB7_1534
	s_branch .LBB7_1536
.LBB7_1533:                             ;   in Loop: Header=BB7_1459 Depth=1
	s_branch .LBB7_1536
.LBB7_1534:                             ;   Parent Loop BB7_1459 Depth=1
                                        ; =>  This Inner Loop Header: Depth=2
	v_mov_b32_e32 v2, 1
	s_and_saveexec_b64 s[20:21], s[4:5]
	s_cbranch_execz .LBB7_1531
; %bb.1535:                             ;   in Loop: Header=BB7_1534 Depth=2
	global_load_dword v2, v[30:31], off offset:20 glc
	s_waitcnt vmcnt(0)
	buffer_wbinvl1_vol
	v_and_b32_e32 v2, 1, v2
	s_branch .LBB7_1531
.LBB7_1536:                             ;   in Loop: Header=BB7_1459 Depth=1
	global_load_dwordx4 v[10:13], v[6:7], off
	s_and_saveexec_b64 s[20:21], s[4:5]
	s_cbranch_execz .LBB7_1458
; %bb.1537:                             ;   in Loop: Header=BB7_1459 Depth=1
	global_load_dwordx2 v[6:7], v3, s[48:49] offset:40
	global_load_dwordx2 v[16:17], v3, s[48:49] offset:24 glc
	global_load_dwordx2 v[18:19], v3, s[48:49]
	v_mov_b32_e32 v2, s19
	s_waitcnt vmcnt(2)
	v_add_co_u32_e32 v14, vcc, 1, v6
	v_addc_co_u32_e32 v15, vcc, 0, v7, vcc
	v_add_co_u32_e32 v12, vcc, s18, v14
	v_addc_co_u32_e32 v13, vcc, v15, v2, vcc
	v_cmp_eq_u64_e32 vcc, 0, v[12:13]
	v_cndmask_b32_e32 v13, v13, v15, vcc
	v_cndmask_b32_e32 v12, v12, v14, vcc
	v_and_b32_e32 v2, v13, v7
	v_and_b32_e32 v6, v12, v6
	v_mul_lo_u32 v2, v2, 24
	v_mul_hi_u32 v7, v6, 24
	v_mul_lo_u32 v6, v6, 24
	s_waitcnt vmcnt(1)
	v_mov_b32_e32 v14, v16
	v_mov_b32_e32 v15, v17
	v_add_u32_e32 v2, v7, v2
	s_waitcnt vmcnt(0)
	v_add_co_u32_e32 v6, vcc, v18, v6
	v_addc_co_u32_e32 v7, vcc, v19, v2, vcc
	global_store_dwordx2 v[6:7], v[16:17], off
	s_waitcnt vmcnt(0)
	global_atomic_cmpswap_x2 v[14:15], v3, v[12:15], s[48:49] offset:24 glc
	s_waitcnt vmcnt(0)
	v_cmp_ne_u64_e32 vcc, v[14:15], v[16:17]
	s_and_b64 exec, exec, vcc
	s_cbranch_execz .LBB7_1458
; %bb.1538:                             ;   in Loop: Header=BB7_1459 Depth=1
	s_mov_b64 s[4:5], 0
.LBB7_1539:                             ;   Parent Loop BB7_1459 Depth=1
                                        ; =>  This Inner Loop Header: Depth=2
	s_sleep 1
	global_store_dwordx2 v[6:7], v[14:15], off
	s_waitcnt vmcnt(0)
	global_atomic_cmpswap_x2 v[16:17], v3, v[12:15], s[48:49] offset:24 glc
	s_waitcnt vmcnt(0)
	v_cmp_eq_u64_e32 vcc, v[16:17], v[14:15]
	v_mov_b32_e32 v14, v16
	s_or_b64 s[4:5], vcc, s[4:5]
	v_mov_b32_e32 v15, v17
	s_andn2_b64 exec, exec, s[4:5]
	s_cbranch_execnz .LBB7_1539
	s_branch .LBB7_1458
.LBB7_1540:
	s_mov_b64 s[4:5], 0
	s_branch .LBB7_1542
.LBB7_1541:
	s_mov_b64 s[4:5], -1
.LBB7_1542:
	s_mov_b32 s41, s12
	s_mov_b32 s52, s13
	;; [unrolled: 1-line block ×3, first 2 shown]
	s_and_b64 vcc, exec, s[4:5]
	s_cbranch_vccz .LBB7_1569
; %bb.1543:
	v_readfirstlane_b32 s4, v44
	s_waitcnt vmcnt(0)
	v_mov_b32_e32 v10, 0
	v_mov_b32_e32 v11, 0
	v_cmp_eq_u32_e64 s[4:5], s4, v44
	s_and_saveexec_b64 s[6:7], s[4:5]
	s_cbranch_execz .LBB7_1549
; %bb.1544:
	v_mov_b32_e32 v2, 0
	global_load_dwordx2 v[8:9], v2, s[48:49] offset:24 glc
	s_waitcnt vmcnt(0)
	buffer_wbinvl1_vol
	global_load_dwordx2 v[6:7], v2, s[48:49] offset:40
	global_load_dwordx2 v[10:11], v2, s[48:49]
	s_waitcnt vmcnt(1)
	v_and_b32_e32 v3, v6, v8
	v_and_b32_e32 v6, v7, v9
	v_mul_lo_u32 v6, v6, 24
	v_mul_hi_u32 v7, v3, 24
	v_mul_lo_u32 v3, v3, 24
	v_add_u32_e32 v7, v7, v6
	s_waitcnt vmcnt(0)
	v_add_co_u32_e32 v6, vcc, v10, v3
	v_addc_co_u32_e32 v7, vcc, v11, v7, vcc
	global_load_dwordx2 v[6:7], v[6:7], off glc
	s_waitcnt vmcnt(0)
	global_atomic_cmpswap_x2 v[10:11], v2, v[6:9], s[48:49] offset:24 glc
	s_waitcnt vmcnt(0)
	buffer_wbinvl1_vol
	v_cmp_ne_u64_e32 vcc, v[10:11], v[8:9]
	s_and_saveexec_b64 s[10:11], vcc
	s_cbranch_execz .LBB7_1548
; %bb.1545:
	s_mov_b64 s[12:13], 0
.LBB7_1546:                             ; =>This Inner Loop Header: Depth=1
	s_sleep 1
	global_load_dwordx2 v[6:7], v2, s[48:49] offset:40
	global_load_dwordx2 v[12:13], v2, s[48:49]
	v_mov_b32_e32 v8, v10
	v_mov_b32_e32 v9, v11
	s_waitcnt vmcnt(1)
	v_and_b32_e32 v3, v6, v8
	s_waitcnt vmcnt(0)
	v_mad_u64_u32 v[10:11], s[14:15], v3, 24, v[12:13]
	v_and_b32_e32 v6, v7, v9
	v_mov_b32_e32 v3, v11
	v_mad_u64_u32 v[6:7], s[14:15], v6, 24, v[3:4]
	v_mov_b32_e32 v11, v6
	global_load_dwordx2 v[6:7], v[10:11], off glc
	s_waitcnt vmcnt(0)
	global_atomic_cmpswap_x2 v[10:11], v2, v[6:9], s[48:49] offset:24 glc
	s_waitcnt vmcnt(0)
	buffer_wbinvl1_vol
	v_cmp_eq_u64_e32 vcc, v[10:11], v[8:9]
	s_or_b64 s[12:13], vcc, s[12:13]
	s_andn2_b64 exec, exec, s[12:13]
	s_cbranch_execnz .LBB7_1546
; %bb.1547:
	s_or_b64 exec, exec, s[12:13]
.LBB7_1548:
	s_or_b64 exec, exec, s[10:11]
.LBB7_1549:
	s_or_b64 exec, exec, s[6:7]
	v_mov_b32_e32 v2, 0
	global_load_dwordx2 v[12:13], v2, s[48:49] offset:40
	global_load_dwordx4 v[6:9], v2, s[48:49]
	v_readfirstlane_b32 s6, v10
	v_readfirstlane_b32 s7, v11
	s_mov_b64 s[10:11], exec
	s_waitcnt vmcnt(1)
	v_readfirstlane_b32 s12, v12
	v_readfirstlane_b32 s13, v13
	s_and_b64 s[12:13], s[6:7], s[12:13]
	s_mul_i32 s14, s13, 24
	s_mul_hi_u32 s15, s12, 24
	s_mul_i32 s16, s12, 24
	s_add_i32 s14, s15, s14
	v_mov_b32_e32 v3, s14
	s_waitcnt vmcnt(0)
	v_add_co_u32_e32 v10, vcc, s16, v6
	v_addc_co_u32_e32 v11, vcc, v7, v3, vcc
	s_and_saveexec_b64 s[14:15], s[4:5]
	s_cbranch_execz .LBB7_1551
; %bb.1550:
	v_mov_b32_e32 v13, s11
	v_mov_b32_e32 v12, s10
	;; [unrolled: 1-line block ×4, first 2 shown]
	global_store_dwordx4 v[10:11], v[12:15], off offset:8
.LBB7_1551:
	s_or_b64 exec, exec, s[14:15]
	s_lshl_b64 s[10:11], s[12:13], 12
	v_mov_b32_e32 v3, s11
	v_add_co_u32_e32 v8, vcc, s10, v8
	v_addc_co_u32_e32 v9, vcc, v9, v3, vcc
	s_movk_i32 s10, 0xff1d
	v_and_or_b32 v0, v0, s10, 34
	s_mov_b32 s12, 0
	v_mov_b32_e32 v3, v2
	v_readfirstlane_b32 s10, v8
	v_readfirstlane_b32 s11, v9
	s_mov_b32 s13, s12
	s_mov_b32 s14, s12
	;; [unrolled: 1-line block ×3, first 2 shown]
	s_nop 1
	global_store_dwordx4 v40, v[0:3], s[10:11]
	s_nop 0
	v_mov_b32_e32 v0, s12
	v_mov_b32_e32 v1, s13
	;; [unrolled: 1-line block ×4, first 2 shown]
	global_store_dwordx4 v40, v[0:3], s[10:11] offset:16
	global_store_dwordx4 v40, v[0:3], s[10:11] offset:32
	;; [unrolled: 1-line block ×3, first 2 shown]
	s_and_saveexec_b64 s[10:11], s[4:5]
	s_cbranch_execz .LBB7_1559
; %bb.1552:
	v_mov_b32_e32 v8, 0
	global_load_dwordx2 v[14:15], v8, s[48:49] offset:32 glc
	global_load_dwordx2 v[0:1], v8, s[48:49] offset:40
	v_mov_b32_e32 v12, s6
	v_mov_b32_e32 v13, s7
	s_waitcnt vmcnt(0)
	v_readfirstlane_b32 s12, v0
	v_readfirstlane_b32 s13, v1
	s_and_b64 s[12:13], s[12:13], s[6:7]
	s_mul_i32 s13, s13, 24
	s_mul_hi_u32 s14, s12, 24
	s_mul_i32 s12, s12, 24
	s_add_i32 s13, s14, s13
	v_mov_b32_e32 v0, s13
	v_add_co_u32_e32 v6, vcc, s12, v6
	v_addc_co_u32_e32 v7, vcc, v7, v0, vcc
	global_store_dwordx2 v[6:7], v[14:15], off
	s_waitcnt vmcnt(0)
	global_atomic_cmpswap_x2 v[2:3], v8, v[12:15], s[48:49] offset:32 glc
	s_waitcnt vmcnt(0)
	v_cmp_ne_u64_e32 vcc, v[2:3], v[14:15]
	s_and_saveexec_b64 s[12:13], vcc
	s_cbranch_execz .LBB7_1555
; %bb.1553:
	s_mov_b64 s[14:15], 0
.LBB7_1554:                             ; =>This Inner Loop Header: Depth=1
	s_sleep 1
	global_store_dwordx2 v[6:7], v[2:3], off
	v_mov_b32_e32 v0, s6
	v_mov_b32_e32 v1, s7
	s_waitcnt vmcnt(0)
	global_atomic_cmpswap_x2 v[0:1], v8, v[0:3], s[48:49] offset:32 glc
	s_waitcnt vmcnt(0)
	v_cmp_eq_u64_e32 vcc, v[0:1], v[2:3]
	v_mov_b32_e32 v3, v1
	s_or_b64 s[14:15], vcc, s[14:15]
	v_mov_b32_e32 v2, v0
	s_andn2_b64 exec, exec, s[14:15]
	s_cbranch_execnz .LBB7_1554
.LBB7_1555:
	s_or_b64 exec, exec, s[12:13]
	v_mov_b32_e32 v3, 0
	global_load_dwordx2 v[0:1], v3, s[48:49] offset:16
	s_mov_b64 s[12:13], exec
	v_mbcnt_lo_u32_b32 v2, s12, 0
	v_mbcnt_hi_u32_b32 v2, s13, v2
	v_cmp_eq_u32_e32 vcc, 0, v2
	s_and_saveexec_b64 s[14:15], vcc
	s_cbranch_execz .LBB7_1557
; %bb.1556:
	s_bcnt1_i32_b64 s12, s[12:13]
	v_mov_b32_e32 v2, s12
	s_waitcnt vmcnt(0)
	global_atomic_add_x2 v[0:1], v[2:3], off offset:8
.LBB7_1557:
	s_or_b64 exec, exec, s[14:15]
	s_waitcnt vmcnt(0)
	global_load_dwordx2 v[2:3], v[0:1], off offset:16
	s_waitcnt vmcnt(0)
	v_cmp_eq_u64_e32 vcc, 0, v[2:3]
	s_cbranch_vccnz .LBB7_1559
; %bb.1558:
	global_load_dword v0, v[0:1], off offset:24
	v_mov_b32_e32 v1, 0
	s_waitcnt vmcnt(0)
	global_store_dwordx2 v[2:3], v[0:1], off
	v_and_b32_e32 v0, 0xffffff, v0
	v_readfirstlane_b32 m0, v0
	s_sendmsg sendmsg(MSG_INTERRUPT)
.LBB7_1559:
	s_or_b64 exec, exec, s[10:11]
	s_branch .LBB7_1563
.LBB7_1560:                             ;   in Loop: Header=BB7_1563 Depth=1
	s_or_b64 exec, exec, s[10:11]
	v_readfirstlane_b32 s10, v0
	s_cmp_eq_u32 s10, 0
	s_cbranch_scc1 .LBB7_1562
; %bb.1561:                             ;   in Loop: Header=BB7_1563 Depth=1
	s_sleep 1
	s_cbranch_execnz .LBB7_1563
	s_branch .LBB7_1565
.LBB7_1562:
	s_branch .LBB7_1565
.LBB7_1563:                             ; =>This Inner Loop Header: Depth=1
	v_mov_b32_e32 v0, 1
	s_and_saveexec_b64 s[10:11], s[4:5]
	s_cbranch_execz .LBB7_1560
; %bb.1564:                             ;   in Loop: Header=BB7_1563 Depth=1
	global_load_dword v0, v[10:11], off offset:20 glc
	s_waitcnt vmcnt(0)
	buffer_wbinvl1_vol
	v_and_b32_e32 v0, 1, v0
	s_branch .LBB7_1560
.LBB7_1565:
	s_and_saveexec_b64 s[10:11], s[4:5]
	s_cbranch_execz .LBB7_1568
; %bb.1566:
	v_mov_b32_e32 v8, 0
	global_load_dwordx2 v[2:3], v8, s[48:49] offset:40
	global_load_dwordx2 v[9:10], v8, s[48:49] offset:24 glc
	global_load_dwordx2 v[6:7], v8, s[48:49]
	v_mov_b32_e32 v1, s7
	s_mov_b64 s[4:5], 0
	s_waitcnt vmcnt(2)
	v_add_co_u32_e32 v11, vcc, 1, v2
	v_addc_co_u32_e32 v12, vcc, 0, v3, vcc
	v_add_co_u32_e32 v0, vcc, s6, v11
	v_addc_co_u32_e32 v1, vcc, v12, v1, vcc
	v_cmp_eq_u64_e32 vcc, 0, v[0:1]
	v_cndmask_b32_e32 v1, v1, v12, vcc
	v_cndmask_b32_e32 v0, v0, v11, vcc
	v_and_b32_e32 v3, v1, v3
	v_and_b32_e32 v2, v0, v2
	v_mul_lo_u32 v3, v3, 24
	v_mul_hi_u32 v11, v2, 24
	v_mul_lo_u32 v12, v2, 24
	s_waitcnt vmcnt(1)
	v_mov_b32_e32 v2, v9
	v_add_u32_e32 v3, v11, v3
	s_waitcnt vmcnt(0)
	v_add_co_u32_e32 v6, vcc, v6, v12
	v_addc_co_u32_e32 v7, vcc, v7, v3, vcc
	global_store_dwordx2 v[6:7], v[9:10], off
	v_mov_b32_e32 v3, v10
	s_waitcnt vmcnt(0)
	global_atomic_cmpswap_x2 v[2:3], v8, v[0:3], s[48:49] offset:24 glc
	s_waitcnt vmcnt(0)
	v_cmp_ne_u64_e32 vcc, v[2:3], v[9:10]
	s_and_b64 exec, exec, vcc
	s_cbranch_execz .LBB7_1568
.LBB7_1567:                             ; =>This Inner Loop Header: Depth=1
	s_sleep 1
	global_store_dwordx2 v[6:7], v[2:3], off
	s_waitcnt vmcnt(0)
	global_atomic_cmpswap_x2 v[9:10], v8, v[0:3], s[48:49] offset:24 glc
	s_waitcnt vmcnt(0)
	v_cmp_eq_u64_e32 vcc, v[9:10], v[2:3]
	v_mov_b32_e32 v2, v9
	s_or_b64 s[4:5], vcc, s[4:5]
	v_mov_b32_e32 v3, v10
	s_andn2_b64 exec, exec, s[4:5]
	s_cbranch_execnz .LBB7_1567
.LBB7_1568:
	s_or_b64 exec, exec, s[10:11]
.LBB7_1569:
	s_waitcnt vmcnt(0)
	v_mov_b32_e32 v0, v4
	v_mov_b32_e32 v1, v5
	s_getpc_b64 s[54:55]
	s_add_u32 s54, s54, _ZNK8migraphx13basic_printerIZNS_4coutEvEUlT_E_ElsEPKc@rel32@lo+4
	s_addc_u32 s55, s55, _ZNK8migraphx13basic_printerIZNS_4coutEvEUlT_E_ElsEPKc@rel32@hi+12
	s_mov_b64 s[42:43], s[8:9]
	s_swappc_b64 s[30:31], s[54:55]
	s_getpc_b64 s[4:5]
	s_add_u32 s4, s4, .str.3@rel32@lo+4
	s_addc_u32 s5, s5, .str.3@rel32@hi+12
	s_mov_b64 s[8:9], s[42:43]
	v_mov_b32_e32 v0, s4
	v_mov_b32_e32 v1, s5
	s_swappc_b64 s[30:31], s[54:55]
	s_mov_b64 s[8:9], s[42:43]
	v_mov_b32_e32 v0, v36
	v_mov_b32_e32 v1, v37
	s_getpc_b64 s[4:5]
	s_add_u32 s4, s4, _ZN8migraphx4testlsIKNS_13basic_printerIZNS_4coutEvEUlT_E_EEEERS3_S7_RKNS0_10expressionINS0_14lhs_expressionIRNS_5arrayIiLj3EEENS0_3nopEEESC_NS0_5equalEEE@rel32@lo+4
	s_addc_u32 s5, s5, _ZN8migraphx4testlsIKNS_13basic_printerIZNS_4coutEvEUlT_E_EEEERS3_S7_RKNS0_10expressionINS0_14lhs_expressionIRNS_5arrayIiLj3EEENS0_3nopEEESC_NS0_5equalEEE@rel32@hi+12
	s_swappc_b64 s[30:31], s[4:5]
	s_getpc_b64 s[4:5]
	s_add_u32 s4, s4, .str.4@rel32@lo+4
	s_addc_u32 s5, s5, .str.4@rel32@hi+12
	s_mov_b64 s[8:9], s[42:43]
	v_mov_b32_e32 v0, s4
	v_mov_b32_e32 v1, s5
	s_mov_b64 s[24:25], s[42:43]
	s_swappc_b64 s[30:31], s[54:55]
	v_readfirstlane_b32 s4, v44
	v_mov_b32_e32 v5, 0
	v_mov_b32_e32 v6, 0
	v_cmp_eq_u32_e64 s[4:5], s4, v44
	s_and_saveexec_b64 s[6:7], s[4:5]
	s_mov_b32 s14, s53
	s_mov_b32 s13, s52
	;; [unrolled: 1-line block ×3, first 2 shown]
	s_cbranch_execz .LBB7_1575
; %bb.1570:
	v_mov_b32_e32 v0, 0
	global_load_dwordx2 v[3:4], v0, s[48:49] offset:24 glc
	s_waitcnt vmcnt(0)
	buffer_wbinvl1_vol
	global_load_dwordx2 v[1:2], v0, s[48:49] offset:40
	global_load_dwordx2 v[5:6], v0, s[48:49]
	s_waitcnt vmcnt(1)
	v_and_b32_e32 v1, v1, v3
	v_and_b32_e32 v2, v2, v4
	v_mul_lo_u32 v2, v2, 24
	v_mul_hi_u32 v7, v1, 24
	v_mul_lo_u32 v1, v1, 24
	v_add_u32_e32 v2, v7, v2
	s_waitcnt vmcnt(0)
	v_add_co_u32_e32 v1, vcc, v5, v1
	v_addc_co_u32_e32 v2, vcc, v6, v2, vcc
	global_load_dwordx2 v[1:2], v[1:2], off glc
	s_waitcnt vmcnt(0)
	global_atomic_cmpswap_x2 v[5:6], v0, v[1:4], s[48:49] offset:24 glc
	s_waitcnt vmcnt(0)
	buffer_wbinvl1_vol
	v_cmp_ne_u64_e32 vcc, v[5:6], v[3:4]
	s_and_saveexec_b64 s[8:9], vcc
	s_cbranch_execz .LBB7_1574
; %bb.1571:
	s_mov_b64 s[10:11], 0
.LBB7_1572:                             ; =>This Inner Loop Header: Depth=1
	s_sleep 1
	global_load_dwordx2 v[1:2], v0, s[48:49] offset:40
	global_load_dwordx2 v[7:8], v0, s[48:49]
	v_mov_b32_e32 v3, v5
	v_mov_b32_e32 v4, v6
	s_waitcnt vmcnt(1)
	v_and_b32_e32 v1, v1, v3
	s_waitcnt vmcnt(0)
	v_mad_u64_u32 v[5:6], s[16:17], v1, 24, v[7:8]
	v_and_b32_e32 v2, v2, v4
	v_mov_b32_e32 v1, v6
	v_mad_u64_u32 v[1:2], s[16:17], v2, 24, v[1:2]
	v_mov_b32_e32 v6, v1
	global_load_dwordx2 v[1:2], v[5:6], off glc
	s_waitcnt vmcnt(0)
	global_atomic_cmpswap_x2 v[5:6], v0, v[1:4], s[48:49] offset:24 glc
	s_waitcnt vmcnt(0)
	buffer_wbinvl1_vol
	v_cmp_eq_u64_e32 vcc, v[5:6], v[3:4]
	s_or_b64 s[10:11], vcc, s[10:11]
	s_andn2_b64 exec, exec, s[10:11]
	s_cbranch_execnz .LBB7_1572
; %bb.1573:
	s_or_b64 exec, exec, s[10:11]
.LBB7_1574:
	s_or_b64 exec, exec, s[8:9]
.LBB7_1575:
	s_or_b64 exec, exec, s[6:7]
	v_mov_b32_e32 v4, 0
	global_load_dwordx2 v[7:8], v4, s[48:49] offset:40
	global_load_dwordx4 v[0:3], v4, s[48:49]
	v_readfirstlane_b32 s6, v5
	v_readfirstlane_b32 s7, v6
	s_mov_b64 s[8:9], exec
	s_waitcnt vmcnt(1)
	v_readfirstlane_b32 s10, v7
	v_readfirstlane_b32 s11, v8
	s_and_b64 s[10:11], s[6:7], s[10:11]
	s_mul_i32 s15, s11, 24
	s_mul_hi_u32 s16, s10, 24
	s_mul_i32 s17, s10, 24
	s_add_i32 s15, s16, s15
	v_mov_b32_e32 v5, s15
	s_waitcnt vmcnt(0)
	v_add_co_u32_e32 v7, vcc, s17, v0
	v_addc_co_u32_e32 v8, vcc, v1, v5, vcc
	s_and_saveexec_b64 s[16:17], s[4:5]
	s_cbranch_execz .LBB7_1577
; %bb.1576:
	v_mov_b32_e32 v10, s9
	v_mov_b32_e32 v9, s8
	;; [unrolled: 1-line block ×4, first 2 shown]
	global_store_dwordx4 v[7:8], v[9:12], off offset:8
.LBB7_1577:
	s_or_b64 exec, exec, s[16:17]
	s_lshl_b64 s[8:9], s[10:11], 12
	v_mov_b32_e32 v5, s9
	v_add_co_u32_e32 v2, vcc, s8, v2
	v_addc_co_u32_e32 v11, vcc, v3, v5, vcc
	s_mov_b32 s8, 0
	v_mov_b32_e32 v3, 33
	v_mov_b32_e32 v5, v4
	;; [unrolled: 1-line block ×3, first 2 shown]
	v_readfirstlane_b32 s16, v2
	v_readfirstlane_b32 s17, v11
	v_add_co_u32_e32 v9, vcc, v2, v40
	s_mov_b32 s9, s8
	s_mov_b32 s10, s8
	;; [unrolled: 1-line block ×3, first 2 shown]
	s_nop 0
	global_store_dwordx4 v40, v[3:6], s[16:17]
	v_mov_b32_e32 v2, s8
	v_addc_co_u32_e32 v10, vcc, 0, v11, vcc
	v_mov_b32_e32 v3, s9
	v_mov_b32_e32 v4, s10
	;; [unrolled: 1-line block ×3, first 2 shown]
	global_store_dwordx4 v40, v[2:5], s[16:17] offset:16
	global_store_dwordx4 v40, v[2:5], s[16:17] offset:32
	global_store_dwordx4 v40, v[2:5], s[16:17] offset:48
	s_and_saveexec_b64 s[10:11], s[4:5]
	s_mov_b64 s[8:9], s[24:25]
	s_cbranch_execz .LBB7_1585
; %bb.1578:
	v_mov_b32_e32 v6, 0
	global_load_dwordx2 v[13:14], v6, s[48:49] offset:32 glc
	global_load_dwordx2 v[2:3], v6, s[48:49] offset:40
	v_mov_b32_e32 v11, s6
	v_mov_b32_e32 v12, s7
	s_waitcnt vmcnt(0)
	v_readfirstlane_b32 s16, v2
	v_readfirstlane_b32 s17, v3
	s_and_b64 s[16:17], s[16:17], s[6:7]
	s_mul_i32 s15, s17, 24
	s_mul_hi_u32 s17, s16, 24
	s_mul_i32 s16, s16, 24
	s_add_i32 s15, s17, s15
	v_mov_b32_e32 v2, s15
	v_add_co_u32_e32 v4, vcc, s16, v0
	v_addc_co_u32_e32 v5, vcc, v1, v2, vcc
	global_store_dwordx2 v[4:5], v[13:14], off
	s_waitcnt vmcnt(0)
	global_atomic_cmpswap_x2 v[2:3], v6, v[11:14], s[48:49] offset:32 glc
	s_waitcnt vmcnt(0)
	v_cmp_ne_u64_e32 vcc, v[2:3], v[13:14]
	s_and_saveexec_b64 s[16:17], vcc
	s_cbranch_execz .LBB7_1581
; %bb.1579:
	s_mov_b64 s[18:19], 0
.LBB7_1580:                             ; =>This Inner Loop Header: Depth=1
	s_sleep 1
	global_store_dwordx2 v[4:5], v[2:3], off
	v_mov_b32_e32 v0, s6
	v_mov_b32_e32 v1, s7
	s_waitcnt vmcnt(0)
	global_atomic_cmpswap_x2 v[0:1], v6, v[0:3], s[48:49] offset:32 glc
	s_waitcnt vmcnt(0)
	v_cmp_eq_u64_e32 vcc, v[0:1], v[2:3]
	v_mov_b32_e32 v3, v1
	s_or_b64 s[18:19], vcc, s[18:19]
	v_mov_b32_e32 v2, v0
	s_andn2_b64 exec, exec, s[18:19]
	s_cbranch_execnz .LBB7_1580
.LBB7_1581:
	s_or_b64 exec, exec, s[16:17]
	v_mov_b32_e32 v3, 0
	global_load_dwordx2 v[0:1], v3, s[48:49] offset:16
	s_mov_b64 s[16:17], exec
	v_mbcnt_lo_u32_b32 v2, s16, 0
	v_mbcnt_hi_u32_b32 v2, s17, v2
	v_cmp_eq_u32_e32 vcc, 0, v2
	s_and_saveexec_b64 s[18:19], vcc
	s_cbranch_execz .LBB7_1583
; %bb.1582:
	s_bcnt1_i32_b64 s15, s[16:17]
	v_mov_b32_e32 v2, s15
	s_waitcnt vmcnt(0)
	global_atomic_add_x2 v[0:1], v[2:3], off offset:8
.LBB7_1583:
	s_or_b64 exec, exec, s[18:19]
	s_waitcnt vmcnt(0)
	global_load_dwordx2 v[2:3], v[0:1], off offset:16
	s_waitcnt vmcnt(0)
	v_cmp_eq_u64_e32 vcc, 0, v[2:3]
	s_cbranch_vccnz .LBB7_1585
; %bb.1584:
	global_load_dword v0, v[0:1], off offset:24
	v_mov_b32_e32 v1, 0
	s_waitcnt vmcnt(0)
	global_store_dwordx2 v[2:3], v[0:1], off
	v_and_b32_e32 v0, 0xffffff, v0
	v_readfirstlane_b32 m0, v0
	s_sendmsg sendmsg(MSG_INTERRUPT)
.LBB7_1585:
	s_or_b64 exec, exec, s[10:11]
	s_branch .LBB7_1589
.LBB7_1586:                             ;   in Loop: Header=BB7_1589 Depth=1
	s_or_b64 exec, exec, s[10:11]
	v_readfirstlane_b32 s10, v0
	s_cmp_eq_u32 s10, 0
	s_cbranch_scc1 .LBB7_1588
; %bb.1587:                             ;   in Loop: Header=BB7_1589 Depth=1
	s_sleep 1
	s_cbranch_execnz .LBB7_1589
	s_branch .LBB7_1591
.LBB7_1588:
	s_branch .LBB7_1591
.LBB7_1589:                             ; =>This Inner Loop Header: Depth=1
	v_mov_b32_e32 v0, 1
	s_and_saveexec_b64 s[10:11], s[4:5]
	s_cbranch_execz .LBB7_1586
; %bb.1590:                             ;   in Loop: Header=BB7_1589 Depth=1
	global_load_dword v0, v[7:8], off offset:20 glc
	s_waitcnt vmcnt(0)
	buffer_wbinvl1_vol
	v_and_b32_e32 v0, 1, v0
	s_branch .LBB7_1586
.LBB7_1591:
	global_load_dwordx2 v[0:1], v[9:10], off
	s_and_saveexec_b64 s[10:11], s[4:5]
	s_cbranch_execz .LBB7_1594
; %bb.1592:
	v_mov_b32_e32 v8, 0
	global_load_dwordx2 v[4:5], v8, s[48:49] offset:40
	global_load_dwordx2 v[9:10], v8, s[48:49] offset:24 glc
	global_load_dwordx2 v[6:7], v8, s[48:49]
	v_mov_b32_e32 v3, s7
	s_mov_b64 s[4:5], 0
	s_waitcnt vmcnt(2)
	v_add_co_u32_e32 v11, vcc, 1, v4
	v_addc_co_u32_e32 v12, vcc, 0, v5, vcc
	v_add_co_u32_e32 v2, vcc, s6, v11
	v_addc_co_u32_e32 v3, vcc, v12, v3, vcc
	v_cmp_eq_u64_e32 vcc, 0, v[2:3]
	v_cndmask_b32_e32 v3, v3, v12, vcc
	v_cndmask_b32_e32 v2, v2, v11, vcc
	v_and_b32_e32 v5, v3, v5
	v_and_b32_e32 v4, v2, v4
	v_mul_lo_u32 v5, v5, 24
	v_mul_hi_u32 v11, v4, 24
	v_mul_lo_u32 v12, v4, 24
	s_waitcnt vmcnt(1)
	v_mov_b32_e32 v4, v9
	v_add_u32_e32 v5, v11, v5
	s_waitcnt vmcnt(0)
	v_add_co_u32_e32 v6, vcc, v6, v12
	v_addc_co_u32_e32 v7, vcc, v7, v5, vcc
	global_store_dwordx2 v[6:7], v[9:10], off
	v_mov_b32_e32 v5, v10
	s_waitcnt vmcnt(0)
	global_atomic_cmpswap_x2 v[4:5], v8, v[2:5], s[48:49] offset:24 glc
	s_waitcnt vmcnt(0)
	v_cmp_ne_u64_e32 vcc, v[4:5], v[9:10]
	s_and_b64 exec, exec, vcc
	s_cbranch_execz .LBB7_1594
.LBB7_1593:                             ; =>This Inner Loop Header: Depth=1
	s_sleep 1
	global_store_dwordx2 v[6:7], v[4:5], off
	s_waitcnt vmcnt(0)
	global_atomic_cmpswap_x2 v[9:10], v8, v[2:5], s[48:49] offset:24 glc
	s_waitcnt vmcnt(0)
	v_cmp_eq_u64_e32 vcc, v[9:10], v[4:5]
	v_mov_b32_e32 v4, v9
	s_or_b64 s[4:5], vcc, s[4:5]
	v_mov_b32_e32 v5, v10
	s_andn2_b64 exec, exec, s[4:5]
	s_cbranch_execnz .LBB7_1593
.LBB7_1594:
	s_or_b64 exec, exec, s[10:11]
	s_and_b64 vcc, exec, s[50:51]
	s_cbranch_vccz .LBB7_1679
; %bb.1595:
	s_waitcnt vmcnt(0)
	v_and_b32_e32 v31, 2, v0
	v_mov_b32_e32 v28, 0
	v_and_b32_e32 v2, -3, v0
	v_mov_b32_e32 v3, v1
	s_mov_b64 s[10:11], 3
	v_mov_b32_e32 v6, 2
	v_mov_b32_e32 v7, 1
	s_getpc_b64 s[6:7]
	s_add_u32 s6, s6, .str.6@rel32@lo+4
	s_addc_u32 s7, s7, .str.6@rel32@hi+12
	s_branch .LBB7_1597
.LBB7_1596:                             ;   in Loop: Header=BB7_1597 Depth=1
	s_or_b64 exec, exec, s[20:21]
	s_sub_u32 s10, s10, s16
	s_subb_u32 s11, s11, s17
	s_add_u32 s6, s6, s16
	s_addc_u32 s7, s7, s17
	s_cmp_lg_u64 s[10:11], 0
	s_cbranch_scc0 .LBB7_1678
.LBB7_1597:                             ; =>This Loop Header: Depth=1
                                        ;     Child Loop BB7_1600 Depth 2
                                        ;     Child Loop BB7_1607 Depth 2
	;; [unrolled: 1-line block ×11, first 2 shown]
	v_cmp_lt_u64_e64 s[4:5], s[10:11], 56
	v_cmp_gt_u64_e64 s[18:19], s[10:11], 7
	s_and_b64 s[4:5], s[4:5], exec
	s_cselect_b32 s17, s11, 0
	s_cselect_b32 s16, s10, 56
	s_and_b64 vcc, exec, s[18:19]
	s_cbranch_vccnz .LBB7_1602
; %bb.1598:                             ;   in Loop: Header=BB7_1597 Depth=1
	v_mov_b32_e32 v10, 0
	s_cmp_eq_u64 s[10:11], 0
	v_mov_b32_e32 v11, 0
	s_mov_b64 s[4:5], 0
	s_cbranch_scc1 .LBB7_1601
; %bb.1599:                             ;   in Loop: Header=BB7_1597 Depth=1
	v_mov_b32_e32 v10, 0
	s_lshl_b64 s[18:19], s[16:17], 3
	s_mov_b64 s[20:21], 0
	v_mov_b32_e32 v11, 0
	s_mov_b64 s[22:23], s[6:7]
.LBB7_1600:                             ;   Parent Loop BB7_1597 Depth=1
                                        ; =>  This Inner Loop Header: Depth=2
	global_load_ubyte v4, v28, s[22:23]
	s_waitcnt vmcnt(0)
	v_and_b32_e32 v27, 0xffff, v4
	v_lshlrev_b64 v[4:5], s20, v[27:28]
	s_add_u32 s20, s20, 8
	s_addc_u32 s21, s21, 0
	s_add_u32 s22, s22, 1
	s_addc_u32 s23, s23, 0
	v_or_b32_e32 v10, v4, v10
	s_cmp_lg_u32 s18, s20
	v_or_b32_e32 v11, v5, v11
	s_cbranch_scc1 .LBB7_1600
.LBB7_1601:                             ;   in Loop: Header=BB7_1597 Depth=1
	s_mov_b32 s15, 0
	s_andn2_b64 vcc, exec, s[4:5]
	s_mov_b64 s[4:5], s[6:7]
	s_cbranch_vccz .LBB7_1603
	s_branch .LBB7_1604
.LBB7_1602:                             ;   in Loop: Header=BB7_1597 Depth=1
                                        ; implicit-def: $vgpr10_vgpr11
                                        ; implicit-def: $sgpr15
	s_mov_b64 s[4:5], s[6:7]
.LBB7_1603:                             ;   in Loop: Header=BB7_1597 Depth=1
	global_load_dwordx2 v[10:11], v28, s[6:7]
	s_add_i32 s15, s16, -8
	s_add_u32 s4, s6, 8
	s_addc_u32 s5, s7, 0
.LBB7_1604:                             ;   in Loop: Header=BB7_1597 Depth=1
	s_cmp_gt_u32 s15, 7
	s_cbranch_scc1 .LBB7_1608
; %bb.1605:                             ;   in Loop: Header=BB7_1597 Depth=1
	s_cmp_eq_u32 s15, 0
	s_cbranch_scc1 .LBB7_1609
; %bb.1606:                             ;   in Loop: Header=BB7_1597 Depth=1
	v_mov_b32_e32 v12, 0
	s_mov_b64 s[18:19], 0
	v_mov_b32_e32 v13, 0
	s_mov_b64 s[20:21], 0
.LBB7_1607:                             ;   Parent Loop BB7_1597 Depth=1
                                        ; =>  This Inner Loop Header: Depth=2
	s_add_u32 s22, s4, s20
	s_addc_u32 s23, s5, s21
	global_load_ubyte v4, v28, s[22:23]
	s_add_u32 s20, s20, 1
	s_addc_u32 s21, s21, 0
	s_waitcnt vmcnt(0)
	v_and_b32_e32 v27, 0xffff, v4
	v_lshlrev_b64 v[4:5], s18, v[27:28]
	s_add_u32 s18, s18, 8
	s_addc_u32 s19, s19, 0
	v_or_b32_e32 v12, v4, v12
	s_cmp_lg_u32 s15, s20
	v_or_b32_e32 v13, v5, v13
	s_cbranch_scc1 .LBB7_1607
	s_branch .LBB7_1610
.LBB7_1608:                             ;   in Loop: Header=BB7_1597 Depth=1
                                        ; implicit-def: $vgpr12_vgpr13
                                        ; implicit-def: $sgpr22
	s_branch .LBB7_1611
.LBB7_1609:                             ;   in Loop: Header=BB7_1597 Depth=1
	v_mov_b32_e32 v12, 0
	v_mov_b32_e32 v13, 0
.LBB7_1610:                             ;   in Loop: Header=BB7_1597 Depth=1
	s_mov_b32 s22, 0
	s_cbranch_execnz .LBB7_1612
.LBB7_1611:                             ;   in Loop: Header=BB7_1597 Depth=1
	global_load_dwordx2 v[12:13], v28, s[4:5]
	s_add_i32 s22, s15, -8
	s_add_u32 s4, s4, 8
	s_addc_u32 s5, s5, 0
.LBB7_1612:                             ;   in Loop: Header=BB7_1597 Depth=1
	s_cmp_gt_u32 s22, 7
	s_cbranch_scc1 .LBB7_1616
; %bb.1613:                             ;   in Loop: Header=BB7_1597 Depth=1
	s_cmp_eq_u32 s22, 0
	s_cbranch_scc1 .LBB7_1617
; %bb.1614:                             ;   in Loop: Header=BB7_1597 Depth=1
	v_mov_b32_e32 v14, 0
	s_mov_b64 s[18:19], 0
	v_mov_b32_e32 v15, 0
	s_mov_b64 s[20:21], 0
.LBB7_1615:                             ;   Parent Loop BB7_1597 Depth=1
                                        ; =>  This Inner Loop Header: Depth=2
	s_add_u32 s24, s4, s20
	s_addc_u32 s25, s5, s21
	global_load_ubyte v4, v28, s[24:25]
	s_add_u32 s20, s20, 1
	s_addc_u32 s21, s21, 0
	s_waitcnt vmcnt(0)
	v_and_b32_e32 v27, 0xffff, v4
	v_lshlrev_b64 v[4:5], s18, v[27:28]
	s_add_u32 s18, s18, 8
	s_addc_u32 s19, s19, 0
	v_or_b32_e32 v14, v4, v14
	s_cmp_lg_u32 s22, s20
	v_or_b32_e32 v15, v5, v15
	s_cbranch_scc1 .LBB7_1615
	s_branch .LBB7_1618
.LBB7_1616:                             ;   in Loop: Header=BB7_1597 Depth=1
                                        ; implicit-def: $sgpr15
	s_branch .LBB7_1619
.LBB7_1617:                             ;   in Loop: Header=BB7_1597 Depth=1
	v_mov_b32_e32 v14, 0
	v_mov_b32_e32 v15, 0
.LBB7_1618:                             ;   in Loop: Header=BB7_1597 Depth=1
	s_mov_b32 s15, 0
	s_cbranch_execnz .LBB7_1620
.LBB7_1619:                             ;   in Loop: Header=BB7_1597 Depth=1
	global_load_dwordx2 v[14:15], v28, s[4:5]
	s_add_i32 s15, s22, -8
	s_add_u32 s4, s4, 8
	s_addc_u32 s5, s5, 0
.LBB7_1620:                             ;   in Loop: Header=BB7_1597 Depth=1
	s_cmp_gt_u32 s15, 7
	s_cbranch_scc1 .LBB7_1624
; %bb.1621:                             ;   in Loop: Header=BB7_1597 Depth=1
	s_cmp_eq_u32 s15, 0
	s_cbranch_scc1 .LBB7_1625
; %bb.1622:                             ;   in Loop: Header=BB7_1597 Depth=1
	v_mov_b32_e32 v16, 0
	s_mov_b64 s[18:19], 0
	v_mov_b32_e32 v17, 0
	s_mov_b64 s[20:21], 0
.LBB7_1623:                             ;   Parent Loop BB7_1597 Depth=1
                                        ; =>  This Inner Loop Header: Depth=2
	s_add_u32 s22, s4, s20
	s_addc_u32 s23, s5, s21
	global_load_ubyte v4, v28, s[22:23]
	s_add_u32 s20, s20, 1
	s_addc_u32 s21, s21, 0
	s_waitcnt vmcnt(0)
	v_and_b32_e32 v27, 0xffff, v4
	v_lshlrev_b64 v[4:5], s18, v[27:28]
	s_add_u32 s18, s18, 8
	s_addc_u32 s19, s19, 0
	v_or_b32_e32 v16, v4, v16
	s_cmp_lg_u32 s15, s20
	v_or_b32_e32 v17, v5, v17
	s_cbranch_scc1 .LBB7_1623
	s_branch .LBB7_1626
.LBB7_1624:                             ;   in Loop: Header=BB7_1597 Depth=1
                                        ; implicit-def: $vgpr16_vgpr17
                                        ; implicit-def: $sgpr22
	s_branch .LBB7_1627
.LBB7_1625:                             ;   in Loop: Header=BB7_1597 Depth=1
	v_mov_b32_e32 v16, 0
	v_mov_b32_e32 v17, 0
.LBB7_1626:                             ;   in Loop: Header=BB7_1597 Depth=1
	s_mov_b32 s22, 0
	s_cbranch_execnz .LBB7_1628
.LBB7_1627:                             ;   in Loop: Header=BB7_1597 Depth=1
	global_load_dwordx2 v[16:17], v28, s[4:5]
	s_add_i32 s22, s15, -8
	s_add_u32 s4, s4, 8
	s_addc_u32 s5, s5, 0
.LBB7_1628:                             ;   in Loop: Header=BB7_1597 Depth=1
	s_cmp_gt_u32 s22, 7
	s_cbranch_scc1 .LBB7_1632
; %bb.1629:                             ;   in Loop: Header=BB7_1597 Depth=1
	s_cmp_eq_u32 s22, 0
	s_cbranch_scc1 .LBB7_1633
; %bb.1630:                             ;   in Loop: Header=BB7_1597 Depth=1
	v_mov_b32_e32 v18, 0
	s_mov_b64 s[18:19], 0
	v_mov_b32_e32 v19, 0
	s_mov_b64 s[20:21], 0
.LBB7_1631:                             ;   Parent Loop BB7_1597 Depth=1
                                        ; =>  This Inner Loop Header: Depth=2
	s_add_u32 s24, s4, s20
	s_addc_u32 s25, s5, s21
	global_load_ubyte v4, v28, s[24:25]
	s_add_u32 s20, s20, 1
	s_addc_u32 s21, s21, 0
	s_waitcnt vmcnt(0)
	v_and_b32_e32 v27, 0xffff, v4
	v_lshlrev_b64 v[4:5], s18, v[27:28]
	s_add_u32 s18, s18, 8
	s_addc_u32 s19, s19, 0
	v_or_b32_e32 v18, v4, v18
	s_cmp_lg_u32 s22, s20
	v_or_b32_e32 v19, v5, v19
	s_cbranch_scc1 .LBB7_1631
	s_branch .LBB7_1634
.LBB7_1632:                             ;   in Loop: Header=BB7_1597 Depth=1
                                        ; implicit-def: $sgpr15
	s_branch .LBB7_1635
.LBB7_1633:                             ;   in Loop: Header=BB7_1597 Depth=1
	v_mov_b32_e32 v18, 0
	v_mov_b32_e32 v19, 0
.LBB7_1634:                             ;   in Loop: Header=BB7_1597 Depth=1
	s_mov_b32 s15, 0
	s_cbranch_execnz .LBB7_1636
.LBB7_1635:                             ;   in Loop: Header=BB7_1597 Depth=1
	global_load_dwordx2 v[18:19], v28, s[4:5]
	s_add_i32 s15, s22, -8
	s_add_u32 s4, s4, 8
	s_addc_u32 s5, s5, 0
.LBB7_1636:                             ;   in Loop: Header=BB7_1597 Depth=1
	s_cmp_gt_u32 s15, 7
	s_cbranch_scc1 .LBB7_1640
; %bb.1637:                             ;   in Loop: Header=BB7_1597 Depth=1
	s_cmp_eq_u32 s15, 0
	s_cbranch_scc1 .LBB7_1641
; %bb.1638:                             ;   in Loop: Header=BB7_1597 Depth=1
	v_mov_b32_e32 v20, 0
	s_mov_b64 s[18:19], 0
	v_mov_b32_e32 v21, 0
	s_mov_b64 s[20:21], 0
.LBB7_1639:                             ;   Parent Loop BB7_1597 Depth=1
                                        ; =>  This Inner Loop Header: Depth=2
	s_add_u32 s22, s4, s20
	s_addc_u32 s23, s5, s21
	global_load_ubyte v4, v28, s[22:23]
	s_add_u32 s20, s20, 1
	s_addc_u32 s21, s21, 0
	s_waitcnt vmcnt(0)
	v_and_b32_e32 v27, 0xffff, v4
	v_lshlrev_b64 v[4:5], s18, v[27:28]
	s_add_u32 s18, s18, 8
	s_addc_u32 s19, s19, 0
	v_or_b32_e32 v20, v4, v20
	s_cmp_lg_u32 s15, s20
	v_or_b32_e32 v21, v5, v21
	s_cbranch_scc1 .LBB7_1639
	s_branch .LBB7_1642
.LBB7_1640:                             ;   in Loop: Header=BB7_1597 Depth=1
                                        ; implicit-def: $vgpr20_vgpr21
                                        ; implicit-def: $sgpr22
	s_branch .LBB7_1643
.LBB7_1641:                             ;   in Loop: Header=BB7_1597 Depth=1
	v_mov_b32_e32 v20, 0
	v_mov_b32_e32 v21, 0
.LBB7_1642:                             ;   in Loop: Header=BB7_1597 Depth=1
	s_mov_b32 s22, 0
	s_cbranch_execnz .LBB7_1644
.LBB7_1643:                             ;   in Loop: Header=BB7_1597 Depth=1
	global_load_dwordx2 v[20:21], v28, s[4:5]
	s_add_i32 s22, s15, -8
	s_add_u32 s4, s4, 8
	s_addc_u32 s5, s5, 0
.LBB7_1644:                             ;   in Loop: Header=BB7_1597 Depth=1
	s_cmp_gt_u32 s22, 7
	s_cbranch_scc1 .LBB7_1648
; %bb.1645:                             ;   in Loop: Header=BB7_1597 Depth=1
	s_cmp_eq_u32 s22, 0
	s_cbranch_scc1 .LBB7_1649
; %bb.1646:                             ;   in Loop: Header=BB7_1597 Depth=1
	v_mov_b32_e32 v22, 0
	s_mov_b64 s[18:19], 0
	v_mov_b32_e32 v23, 0
	s_mov_b64 s[20:21], s[4:5]
.LBB7_1647:                             ;   Parent Loop BB7_1597 Depth=1
                                        ; =>  This Inner Loop Header: Depth=2
	global_load_ubyte v4, v28, s[20:21]
	s_add_i32 s22, s22, -1
	s_waitcnt vmcnt(0)
	v_and_b32_e32 v27, 0xffff, v4
	v_lshlrev_b64 v[4:5], s18, v[27:28]
	s_add_u32 s18, s18, 8
	s_addc_u32 s19, s19, 0
	s_add_u32 s20, s20, 1
	s_addc_u32 s21, s21, 0
	v_or_b32_e32 v22, v4, v22
	s_cmp_lg_u32 s22, 0
	v_or_b32_e32 v23, v5, v23
	s_cbranch_scc1 .LBB7_1647
	s_branch .LBB7_1650
.LBB7_1648:                             ;   in Loop: Header=BB7_1597 Depth=1
	s_branch .LBB7_1651
.LBB7_1649:                             ;   in Loop: Header=BB7_1597 Depth=1
	v_mov_b32_e32 v22, 0
	v_mov_b32_e32 v23, 0
.LBB7_1650:                             ;   in Loop: Header=BB7_1597 Depth=1
	s_cbranch_execnz .LBB7_1652
.LBB7_1651:                             ;   in Loop: Header=BB7_1597 Depth=1
	global_load_dwordx2 v[22:23], v28, s[4:5]
.LBB7_1652:                             ;   in Loop: Header=BB7_1597 Depth=1
	v_readfirstlane_b32 s4, v44
	s_waitcnt vmcnt(0)
	v_mov_b32_e32 v4, 0
	v_mov_b32_e32 v5, 0
	v_cmp_eq_u32_e64 s[4:5], s4, v44
	s_and_saveexec_b64 s[18:19], s[4:5]
	s_cbranch_execz .LBB7_1658
; %bb.1653:                             ;   in Loop: Header=BB7_1597 Depth=1
	global_load_dwordx2 v[26:27], v28, s[48:49] offset:24 glc
	s_waitcnt vmcnt(0)
	buffer_wbinvl1_vol
	global_load_dwordx2 v[4:5], v28, s[48:49] offset:40
	global_load_dwordx2 v[8:9], v28, s[48:49]
	s_waitcnt vmcnt(1)
	v_and_b32_e32 v4, v4, v26
	v_and_b32_e32 v5, v5, v27
	v_mul_lo_u32 v5, v5, 24
	v_mul_hi_u32 v24, v4, 24
	v_mul_lo_u32 v4, v4, 24
	v_add_u32_e32 v5, v24, v5
	s_waitcnt vmcnt(0)
	v_add_co_u32_e32 v4, vcc, v8, v4
	v_addc_co_u32_e32 v5, vcc, v9, v5, vcc
	global_load_dwordx2 v[24:25], v[4:5], off glc
	s_waitcnt vmcnt(0)
	global_atomic_cmpswap_x2 v[4:5], v28, v[24:27], s[48:49] offset:24 glc
	s_waitcnt vmcnt(0)
	buffer_wbinvl1_vol
	v_cmp_ne_u64_e32 vcc, v[4:5], v[26:27]
	s_and_saveexec_b64 s[20:21], vcc
	s_cbranch_execz .LBB7_1657
; %bb.1654:                             ;   in Loop: Header=BB7_1597 Depth=1
	s_mov_b64 s[22:23], 0
.LBB7_1655:                             ;   Parent Loop BB7_1597 Depth=1
                                        ; =>  This Inner Loop Header: Depth=2
	s_sleep 1
	global_load_dwordx2 v[8:9], v28, s[48:49] offset:40
	global_load_dwordx2 v[24:25], v28, s[48:49]
	v_mov_b32_e32 v27, v5
	v_mov_b32_e32 v26, v4
	s_waitcnt vmcnt(1)
	v_and_b32_e32 v4, v8, v26
	s_waitcnt vmcnt(0)
	v_mad_u64_u32 v[4:5], s[24:25], v4, 24, v[24:25]
	v_and_b32_e32 v8, v9, v27
	v_mad_u64_u32 v[8:9], s[24:25], v8, 24, v[5:6]
	v_mov_b32_e32 v5, v8
	global_load_dwordx2 v[24:25], v[4:5], off glc
	s_waitcnt vmcnt(0)
	global_atomic_cmpswap_x2 v[4:5], v28, v[24:27], s[48:49] offset:24 glc
	s_waitcnt vmcnt(0)
	buffer_wbinvl1_vol
	v_cmp_eq_u64_e32 vcc, v[4:5], v[26:27]
	s_or_b64 s[22:23], vcc, s[22:23]
	s_andn2_b64 exec, exec, s[22:23]
	s_cbranch_execnz .LBB7_1655
; %bb.1656:                             ;   in Loop: Header=BB7_1597 Depth=1
	s_or_b64 exec, exec, s[22:23]
.LBB7_1657:                             ;   in Loop: Header=BB7_1597 Depth=1
	s_or_b64 exec, exec, s[20:21]
.LBB7_1658:                             ;   in Loop: Header=BB7_1597 Depth=1
	s_or_b64 exec, exec, s[18:19]
	global_load_dwordx2 v[8:9], v28, s[48:49] offset:40
	global_load_dwordx4 v[24:27], v28, s[48:49]
	v_readfirstlane_b32 s18, v4
	v_readfirstlane_b32 s19, v5
	s_mov_b64 s[20:21], exec
	s_waitcnt vmcnt(1)
	v_readfirstlane_b32 s22, v8
	v_readfirstlane_b32 s23, v9
	s_and_b64 s[22:23], s[18:19], s[22:23]
	s_mul_i32 s15, s23, 24
	s_mul_hi_u32 s24, s22, 24
	s_mul_i32 s25, s22, 24
	s_add_i32 s15, s24, s15
	v_mov_b32_e32 v4, s15
	s_waitcnt vmcnt(0)
	v_add_co_u32_e32 v29, vcc, s25, v24
	v_addc_co_u32_e32 v30, vcc, v25, v4, vcc
	s_and_saveexec_b64 s[24:25], s[4:5]
	s_cbranch_execz .LBB7_1660
; %bb.1659:                             ;   in Loop: Header=BB7_1597 Depth=1
	v_mov_b32_e32 v4, s20
	v_mov_b32_e32 v5, s21
	global_store_dwordx4 v[29:30], v[4:7], off offset:8
.LBB7_1660:                             ;   in Loop: Header=BB7_1597 Depth=1
	s_or_b64 exec, exec, s[24:25]
	s_lshl_b64 s[20:21], s[22:23], 12
	v_mov_b32_e32 v4, s21
	v_add_co_u32_e32 v26, vcc, s20, v26
	v_addc_co_u32_e32 v32, vcc, v27, v4, vcc
	v_cmp_gt_u64_e64 vcc, s[10:11], 56
	v_or_b32_e32 v5, v2, v31
	s_lshl_b32 s15, s16, 2
	v_cndmask_b32_e32 v2, v5, v2, vcc
	s_add_i32 s15, s15, 28
	v_or_b32_e32 v4, 0, v3
	s_and_b32 s15, s15, 0x1e0
	v_and_b32_e32 v2, 0xffffff1f, v2
	v_cndmask_b32_e32 v9, v4, v3, vcc
	v_or_b32_e32 v8, s15, v2
	v_readfirstlane_b32 s20, v26
	v_readfirstlane_b32 s21, v32
	s_nop 4
	global_store_dwordx4 v40, v[8:11], s[20:21]
	global_store_dwordx4 v40, v[12:15], s[20:21] offset:16
	global_store_dwordx4 v40, v[16:19], s[20:21] offset:32
	;; [unrolled: 1-line block ×3, first 2 shown]
	s_and_saveexec_b64 s[20:21], s[4:5]
	s_cbranch_execz .LBB7_1668
; %bb.1661:                             ;   in Loop: Header=BB7_1597 Depth=1
	global_load_dwordx2 v[12:13], v28, s[48:49] offset:32 glc
	global_load_dwordx2 v[2:3], v28, s[48:49] offset:40
	v_mov_b32_e32 v10, s18
	v_mov_b32_e32 v11, s19
	s_waitcnt vmcnt(0)
	v_readfirstlane_b32 s22, v2
	v_readfirstlane_b32 s23, v3
	s_and_b64 s[22:23], s[22:23], s[18:19]
	s_mul_i32 s15, s23, 24
	s_mul_hi_u32 s23, s22, 24
	s_mul_i32 s22, s22, 24
	s_add_i32 s15, s23, s15
	v_mov_b32_e32 v2, s15
	v_add_co_u32_e32 v8, vcc, s22, v24
	v_addc_co_u32_e32 v9, vcc, v25, v2, vcc
	global_store_dwordx2 v[8:9], v[12:13], off
	s_waitcnt vmcnt(0)
	global_atomic_cmpswap_x2 v[4:5], v28, v[10:13], s[48:49] offset:32 glc
	s_waitcnt vmcnt(0)
	v_cmp_ne_u64_e32 vcc, v[4:5], v[12:13]
	s_and_saveexec_b64 s[22:23], vcc
	s_cbranch_execz .LBB7_1664
; %bb.1662:                             ;   in Loop: Header=BB7_1597 Depth=1
	s_mov_b64 s[24:25], 0
.LBB7_1663:                             ;   Parent Loop BB7_1597 Depth=1
                                        ; =>  This Inner Loop Header: Depth=2
	s_sleep 1
	global_store_dwordx2 v[8:9], v[4:5], off
	v_mov_b32_e32 v2, s18
	v_mov_b32_e32 v3, s19
	s_waitcnt vmcnt(0)
	global_atomic_cmpswap_x2 v[2:3], v28, v[2:5], s[48:49] offset:32 glc
	s_waitcnt vmcnt(0)
	v_cmp_eq_u64_e32 vcc, v[2:3], v[4:5]
	v_mov_b32_e32 v5, v3
	s_or_b64 s[24:25], vcc, s[24:25]
	v_mov_b32_e32 v4, v2
	s_andn2_b64 exec, exec, s[24:25]
	s_cbranch_execnz .LBB7_1663
.LBB7_1664:                             ;   in Loop: Header=BB7_1597 Depth=1
	s_or_b64 exec, exec, s[22:23]
	global_load_dwordx2 v[2:3], v28, s[48:49] offset:16
	s_mov_b64 s[24:25], exec
	v_mbcnt_lo_u32_b32 v4, s24, 0
	v_mbcnt_hi_u32_b32 v4, s25, v4
	v_cmp_eq_u32_e32 vcc, 0, v4
	s_and_saveexec_b64 s[22:23], vcc
	s_cbranch_execz .LBB7_1666
; %bb.1665:                             ;   in Loop: Header=BB7_1597 Depth=1
	s_bcnt1_i32_b64 s15, s[24:25]
	v_mov_b32_e32 v27, s15
	s_waitcnt vmcnt(0)
	global_atomic_add_x2 v[2:3], v[27:28], off offset:8
.LBB7_1666:                             ;   in Loop: Header=BB7_1597 Depth=1
	s_or_b64 exec, exec, s[22:23]
	s_waitcnt vmcnt(0)
	global_load_dwordx2 v[4:5], v[2:3], off offset:16
	s_waitcnt vmcnt(0)
	v_cmp_eq_u64_e32 vcc, 0, v[4:5]
	s_cbranch_vccnz .LBB7_1668
; %bb.1667:                             ;   in Loop: Header=BB7_1597 Depth=1
	global_load_dword v27, v[2:3], off offset:24
	s_waitcnt vmcnt(0)
	v_and_b32_e32 v2, 0xffffff, v27
	v_readfirstlane_b32 m0, v2
	global_store_dwordx2 v[4:5], v[27:28], off
	s_sendmsg sendmsg(MSG_INTERRUPT)
.LBB7_1668:                             ;   in Loop: Header=BB7_1597 Depth=1
	s_or_b64 exec, exec, s[20:21]
	v_add_co_u32_e32 v2, vcc, v26, v40
	v_addc_co_u32_e32 v3, vcc, 0, v32, vcc
	s_branch .LBB7_1672
.LBB7_1669:                             ;   in Loop: Header=BB7_1672 Depth=2
	s_or_b64 exec, exec, s[20:21]
	v_readfirstlane_b32 s15, v4
	s_cmp_eq_u32 s15, 0
	s_cbranch_scc1 .LBB7_1671
; %bb.1670:                             ;   in Loop: Header=BB7_1672 Depth=2
	s_sleep 1
	s_cbranch_execnz .LBB7_1672
	s_branch .LBB7_1674
.LBB7_1671:                             ;   in Loop: Header=BB7_1597 Depth=1
	s_branch .LBB7_1674
.LBB7_1672:                             ;   Parent Loop BB7_1597 Depth=1
                                        ; =>  This Inner Loop Header: Depth=2
	v_mov_b32_e32 v4, 1
	s_and_saveexec_b64 s[20:21], s[4:5]
	s_cbranch_execz .LBB7_1669
; %bb.1673:                             ;   in Loop: Header=BB7_1672 Depth=2
	global_load_dword v4, v[29:30], off offset:20 glc
	s_waitcnt vmcnt(0)
	buffer_wbinvl1_vol
	v_and_b32_e32 v4, 1, v4
	s_branch .LBB7_1669
.LBB7_1674:                             ;   in Loop: Header=BB7_1597 Depth=1
	global_load_dwordx4 v[2:5], v[2:3], off
	s_and_saveexec_b64 s[20:21], s[4:5]
	s_cbranch_execz .LBB7_1596
; %bb.1675:                             ;   in Loop: Header=BB7_1597 Depth=1
	global_load_dwordx2 v[4:5], v28, s[48:49] offset:40
	global_load_dwordx2 v[12:13], v28, s[48:49] offset:24 glc
	global_load_dwordx2 v[14:15], v28, s[48:49]
	v_mov_b32_e32 v9, s19
	s_waitcnt vmcnt(2)
	v_add_co_u32_e32 v10, vcc, 1, v4
	v_addc_co_u32_e32 v11, vcc, 0, v5, vcc
	v_add_co_u32_e32 v8, vcc, s18, v10
	v_addc_co_u32_e32 v9, vcc, v11, v9, vcc
	v_cmp_eq_u64_e32 vcc, 0, v[8:9]
	v_cndmask_b32_e32 v9, v9, v11, vcc
	v_cndmask_b32_e32 v8, v8, v10, vcc
	v_and_b32_e32 v5, v9, v5
	v_and_b32_e32 v4, v8, v4
	v_mul_lo_u32 v5, v5, 24
	v_mul_hi_u32 v11, v4, 24
	v_mul_lo_u32 v4, v4, 24
	s_waitcnt vmcnt(1)
	v_mov_b32_e32 v10, v12
	v_add_u32_e32 v5, v11, v5
	s_waitcnt vmcnt(0)
	v_add_co_u32_e32 v4, vcc, v14, v4
	v_addc_co_u32_e32 v5, vcc, v15, v5, vcc
	global_store_dwordx2 v[4:5], v[12:13], off
	v_mov_b32_e32 v11, v13
	s_waitcnt vmcnt(0)
	global_atomic_cmpswap_x2 v[10:11], v28, v[8:11], s[48:49] offset:24 glc
	s_waitcnt vmcnt(0)
	v_cmp_ne_u64_e32 vcc, v[10:11], v[12:13]
	s_and_b64 exec, exec, vcc
	s_cbranch_execz .LBB7_1596
; %bb.1676:                             ;   in Loop: Header=BB7_1597 Depth=1
	s_mov_b64 s[4:5], 0
.LBB7_1677:                             ;   Parent Loop BB7_1597 Depth=1
                                        ; =>  This Inner Loop Header: Depth=2
	s_sleep 1
	global_store_dwordx2 v[4:5], v[10:11], off
	s_waitcnt vmcnt(0)
	global_atomic_cmpswap_x2 v[12:13], v28, v[8:11], s[48:49] offset:24 glc
	s_waitcnt vmcnt(0)
	v_cmp_eq_u64_e32 vcc, v[12:13], v[10:11]
	v_mov_b32_e32 v10, v12
	s_or_b64 s[4:5], vcc, s[4:5]
	v_mov_b32_e32 v11, v13
	s_andn2_b64 exec, exec, s[4:5]
	s_cbranch_execnz .LBB7_1677
	s_branch .LBB7_1596
.LBB7_1678:
	s_branch .LBB7_1706
.LBB7_1679:
                                        ; implicit-def: $vgpr2_vgpr3
	s_cbranch_execz .LBB7_1706
; %bb.1680:
	v_readfirstlane_b32 s4, v44
	v_mov_b32_e32 v8, 0
	v_mov_b32_e32 v9, 0
	v_cmp_eq_u32_e64 s[4:5], s4, v44
	s_and_saveexec_b64 s[6:7], s[4:5]
	s_cbranch_execz .LBB7_1686
; %bb.1681:
	s_waitcnt vmcnt(0)
	v_mov_b32_e32 v2, 0
	global_load_dwordx2 v[5:6], v2, s[48:49] offset:24 glc
	s_waitcnt vmcnt(0)
	buffer_wbinvl1_vol
	global_load_dwordx2 v[3:4], v2, s[48:49] offset:40
	global_load_dwordx2 v[7:8], v2, s[48:49]
	s_waitcnt vmcnt(1)
	v_and_b32_e32 v3, v3, v5
	v_and_b32_e32 v4, v4, v6
	v_mul_lo_u32 v4, v4, 24
	v_mul_hi_u32 v9, v3, 24
	v_mul_lo_u32 v3, v3, 24
	v_add_u32_e32 v4, v9, v4
	s_waitcnt vmcnt(0)
	v_add_co_u32_e32 v3, vcc, v7, v3
	v_addc_co_u32_e32 v4, vcc, v8, v4, vcc
	global_load_dwordx2 v[3:4], v[3:4], off glc
	s_waitcnt vmcnt(0)
	global_atomic_cmpswap_x2 v[8:9], v2, v[3:6], s[48:49] offset:24 glc
	s_waitcnt vmcnt(0)
	buffer_wbinvl1_vol
	v_cmp_ne_u64_e32 vcc, v[8:9], v[5:6]
	s_and_saveexec_b64 s[10:11], vcc
	s_cbranch_execz .LBB7_1685
; %bb.1682:
	s_mov_b64 s[16:17], 0
.LBB7_1683:                             ; =>This Inner Loop Header: Depth=1
	s_sleep 1
	global_load_dwordx2 v[3:4], v2, s[48:49] offset:40
	global_load_dwordx2 v[10:11], v2, s[48:49]
	v_mov_b32_e32 v5, v8
	v_mov_b32_e32 v6, v9
	s_waitcnt vmcnt(1)
	v_and_b32_e32 v3, v3, v5
	s_waitcnt vmcnt(0)
	v_mad_u64_u32 v[7:8], s[18:19], v3, 24, v[10:11]
	v_and_b32_e32 v4, v4, v6
	v_mov_b32_e32 v3, v8
	v_mad_u64_u32 v[3:4], s[18:19], v4, 24, v[3:4]
	v_mov_b32_e32 v8, v3
	global_load_dwordx2 v[3:4], v[7:8], off glc
	s_waitcnt vmcnt(0)
	global_atomic_cmpswap_x2 v[8:9], v2, v[3:6], s[48:49] offset:24 glc
	s_waitcnt vmcnt(0)
	buffer_wbinvl1_vol
	v_cmp_eq_u64_e32 vcc, v[8:9], v[5:6]
	s_or_b64 s[16:17], vcc, s[16:17]
	s_andn2_b64 exec, exec, s[16:17]
	s_cbranch_execnz .LBB7_1683
; %bb.1684:
	s_or_b64 exec, exec, s[16:17]
.LBB7_1685:
	s_or_b64 exec, exec, s[10:11]
.LBB7_1686:
	s_or_b64 exec, exec, s[6:7]
	s_waitcnt vmcnt(0)
	v_mov_b32_e32 v2, 0
	global_load_dwordx2 v[10:11], v2, s[48:49] offset:40
	global_load_dwordx4 v[4:7], v2, s[48:49]
	v_readfirstlane_b32 s6, v8
	v_readfirstlane_b32 s7, v9
	s_mov_b64 s[10:11], exec
	s_waitcnt vmcnt(1)
	v_readfirstlane_b32 s16, v10
	v_readfirstlane_b32 s17, v11
	s_and_b64 s[16:17], s[6:7], s[16:17]
	s_mul_i32 s15, s17, 24
	s_mul_hi_u32 s18, s16, 24
	s_mul_i32 s19, s16, 24
	s_add_i32 s15, s18, s15
	v_mov_b32_e32 v3, s15
	s_waitcnt vmcnt(0)
	v_add_co_u32_e32 v8, vcc, s19, v4
	v_addc_co_u32_e32 v9, vcc, v5, v3, vcc
	s_and_saveexec_b64 s[18:19], s[4:5]
	s_cbranch_execz .LBB7_1688
; %bb.1687:
	v_mov_b32_e32 v10, s10
	v_mov_b32_e32 v11, s11
	;; [unrolled: 1-line block ×4, first 2 shown]
	global_store_dwordx4 v[8:9], v[10:13], off offset:8
.LBB7_1688:
	s_or_b64 exec, exec, s[18:19]
	s_lshl_b64 s[10:11], s[16:17], 12
	v_mov_b32_e32 v3, s11
	v_add_co_u32_e32 v10, vcc, s10, v6
	v_addc_co_u32_e32 v11, vcc, v7, v3, vcc
	s_movk_i32 s10, 0xff1f
	v_and_or_b32 v0, v0, s10, 32
	s_mov_b32 s16, 0
	v_mov_b32_e32 v3, v2
	v_readfirstlane_b32 s10, v10
	v_readfirstlane_b32 s11, v11
	v_add_co_u32_e32 v6, vcc, v10, v40
	s_mov_b32 s17, s16
	s_mov_b32 s18, s16
	;; [unrolled: 1-line block ×3, first 2 shown]
	s_nop 0
	global_store_dwordx4 v40, v[0:3], s[10:11]
	v_addc_co_u32_e32 v7, vcc, 0, v11, vcc
	v_mov_b32_e32 v0, s16
	v_mov_b32_e32 v1, s17
	;; [unrolled: 1-line block ×4, first 2 shown]
	global_store_dwordx4 v40, v[0:3], s[10:11] offset:16
	global_store_dwordx4 v40, v[0:3], s[10:11] offset:32
	;; [unrolled: 1-line block ×3, first 2 shown]
	s_and_saveexec_b64 s[10:11], s[4:5]
	s_cbranch_execz .LBB7_1696
; %bb.1689:
	v_mov_b32_e32 v10, 0
	global_load_dwordx2 v[13:14], v10, s[48:49] offset:32 glc
	global_load_dwordx2 v[0:1], v10, s[48:49] offset:40
	v_mov_b32_e32 v11, s6
	v_mov_b32_e32 v12, s7
	s_waitcnt vmcnt(0)
	v_readfirstlane_b32 s16, v0
	v_readfirstlane_b32 s17, v1
	s_and_b64 s[16:17], s[16:17], s[6:7]
	s_mul_i32 s15, s17, 24
	s_mul_hi_u32 s17, s16, 24
	s_mul_i32 s16, s16, 24
	s_add_i32 s15, s17, s15
	v_mov_b32_e32 v0, s15
	v_add_co_u32_e32 v4, vcc, s16, v4
	v_addc_co_u32_e32 v5, vcc, v5, v0, vcc
	global_store_dwordx2 v[4:5], v[13:14], off
	s_waitcnt vmcnt(0)
	global_atomic_cmpswap_x2 v[2:3], v10, v[11:14], s[48:49] offset:32 glc
	s_waitcnt vmcnt(0)
	v_cmp_ne_u64_e32 vcc, v[2:3], v[13:14]
	s_and_saveexec_b64 s[16:17], vcc
	s_cbranch_execz .LBB7_1692
; %bb.1690:
	s_mov_b64 s[18:19], 0
.LBB7_1691:                             ; =>This Inner Loop Header: Depth=1
	s_sleep 1
	global_store_dwordx2 v[4:5], v[2:3], off
	v_mov_b32_e32 v0, s6
	v_mov_b32_e32 v1, s7
	s_waitcnt vmcnt(0)
	global_atomic_cmpswap_x2 v[0:1], v10, v[0:3], s[48:49] offset:32 glc
	s_waitcnt vmcnt(0)
	v_cmp_eq_u64_e32 vcc, v[0:1], v[2:3]
	v_mov_b32_e32 v3, v1
	s_or_b64 s[18:19], vcc, s[18:19]
	v_mov_b32_e32 v2, v0
	s_andn2_b64 exec, exec, s[18:19]
	s_cbranch_execnz .LBB7_1691
.LBB7_1692:
	s_or_b64 exec, exec, s[16:17]
	v_mov_b32_e32 v3, 0
	global_load_dwordx2 v[0:1], v3, s[48:49] offset:16
	s_mov_b64 s[16:17], exec
	v_mbcnt_lo_u32_b32 v2, s16, 0
	v_mbcnt_hi_u32_b32 v2, s17, v2
	v_cmp_eq_u32_e32 vcc, 0, v2
	s_and_saveexec_b64 s[18:19], vcc
	s_cbranch_execz .LBB7_1694
; %bb.1693:
	s_bcnt1_i32_b64 s15, s[16:17]
	v_mov_b32_e32 v2, s15
	s_waitcnt vmcnt(0)
	global_atomic_add_x2 v[0:1], v[2:3], off offset:8
.LBB7_1694:
	s_or_b64 exec, exec, s[18:19]
	s_waitcnt vmcnt(0)
	global_load_dwordx2 v[2:3], v[0:1], off offset:16
	s_waitcnt vmcnt(0)
	v_cmp_eq_u64_e32 vcc, 0, v[2:3]
	s_cbranch_vccnz .LBB7_1696
; %bb.1695:
	global_load_dword v0, v[0:1], off offset:24
	v_mov_b32_e32 v1, 0
	s_waitcnt vmcnt(0)
	global_store_dwordx2 v[2:3], v[0:1], off
	v_and_b32_e32 v0, 0xffffff, v0
	v_readfirstlane_b32 m0, v0
	s_sendmsg sendmsg(MSG_INTERRUPT)
.LBB7_1696:
	s_or_b64 exec, exec, s[10:11]
	s_branch .LBB7_1700
.LBB7_1697:                             ;   in Loop: Header=BB7_1700 Depth=1
	s_or_b64 exec, exec, s[10:11]
	v_readfirstlane_b32 s10, v0
	s_cmp_eq_u32 s10, 0
	s_cbranch_scc1 .LBB7_1699
; %bb.1698:                             ;   in Loop: Header=BB7_1700 Depth=1
	s_sleep 1
	s_cbranch_execnz .LBB7_1700
	s_branch .LBB7_1702
.LBB7_1699:
	s_branch .LBB7_1702
.LBB7_1700:                             ; =>This Inner Loop Header: Depth=1
	v_mov_b32_e32 v0, 1
	s_and_saveexec_b64 s[10:11], s[4:5]
	s_cbranch_execz .LBB7_1697
; %bb.1701:                             ;   in Loop: Header=BB7_1700 Depth=1
	global_load_dword v0, v[8:9], off offset:20 glc
	s_waitcnt vmcnt(0)
	buffer_wbinvl1_vol
	v_and_b32_e32 v0, 1, v0
	s_branch .LBB7_1697
.LBB7_1702:
	global_load_dwordx2 v[2:3], v[6:7], off
	s_and_saveexec_b64 s[10:11], s[4:5]
	s_cbranch_execz .LBB7_1705
; %bb.1703:
	v_mov_b32_e32 v8, 0
	global_load_dwordx2 v[0:1], v8, s[48:49] offset:40
	global_load_dwordx2 v[9:10], v8, s[48:49] offset:24 glc
	global_load_dwordx2 v[11:12], v8, s[48:49]
	v_mov_b32_e32 v5, s7
	s_mov_b64 s[4:5], 0
	s_waitcnt vmcnt(2)
	v_add_co_u32_e32 v6, vcc, 1, v0
	v_addc_co_u32_e32 v7, vcc, 0, v1, vcc
	v_add_co_u32_e32 v4, vcc, s6, v6
	v_addc_co_u32_e32 v5, vcc, v7, v5, vcc
	v_cmp_eq_u64_e32 vcc, 0, v[4:5]
	v_cndmask_b32_e32 v5, v5, v7, vcc
	v_cndmask_b32_e32 v4, v4, v6, vcc
	v_and_b32_e32 v1, v5, v1
	v_and_b32_e32 v0, v4, v0
	v_mul_lo_u32 v1, v1, 24
	v_mul_hi_u32 v7, v0, 24
	v_mul_lo_u32 v0, v0, 24
	s_waitcnt vmcnt(1)
	v_mov_b32_e32 v6, v9
	v_add_u32_e32 v1, v7, v1
	s_waitcnt vmcnt(0)
	v_add_co_u32_e32 v0, vcc, v11, v0
	v_addc_co_u32_e32 v1, vcc, v12, v1, vcc
	global_store_dwordx2 v[0:1], v[9:10], off
	v_mov_b32_e32 v7, v10
	s_waitcnt vmcnt(0)
	global_atomic_cmpswap_x2 v[6:7], v8, v[4:7], s[48:49] offset:24 glc
	s_waitcnt vmcnt(0)
	v_cmp_ne_u64_e32 vcc, v[6:7], v[9:10]
	s_and_b64 exec, exec, vcc
	s_cbranch_execz .LBB7_1705
.LBB7_1704:                             ; =>This Inner Loop Header: Depth=1
	s_sleep 1
	global_store_dwordx2 v[0:1], v[6:7], off
	s_waitcnt vmcnt(0)
	global_atomic_cmpswap_x2 v[9:10], v8, v[4:7], s[48:49] offset:24 glc
	s_waitcnt vmcnt(0)
	v_cmp_eq_u64_e32 vcc, v[9:10], v[6:7]
	v_mov_b32_e32 v6, v9
	s_or_b64 s[4:5], vcc, s[4:5]
	v_mov_b32_e32 v7, v10
	s_andn2_b64 exec, exec, s[4:5]
	s_cbranch_execnz .LBB7_1704
.LBB7_1705:
	s_or_b64 exec, exec, s[10:11]
.LBB7_1706:
	v_readfirstlane_b32 s4, v44
	s_waitcnt vmcnt(0)
	v_mov_b32_e32 v0, 0
	v_mov_b32_e32 v1, 0
	v_cmp_eq_u32_e64 s[4:5], s4, v44
	s_and_saveexec_b64 s[6:7], s[4:5]
	s_cbranch_execz .LBB7_1712
; %bb.1707:
	v_mov_b32_e32 v4, 0
	global_load_dwordx2 v[7:8], v4, s[48:49] offset:24 glc
	s_waitcnt vmcnt(0)
	buffer_wbinvl1_vol
	global_load_dwordx2 v[0:1], v4, s[48:49] offset:40
	global_load_dwordx2 v[5:6], v4, s[48:49]
	s_waitcnt vmcnt(1)
	v_and_b32_e32 v0, v0, v7
	v_and_b32_e32 v1, v1, v8
	v_mul_lo_u32 v1, v1, 24
	v_mul_hi_u32 v9, v0, 24
	v_mul_lo_u32 v0, v0, 24
	v_add_u32_e32 v1, v9, v1
	s_waitcnt vmcnt(0)
	v_add_co_u32_e32 v0, vcc, v5, v0
	v_addc_co_u32_e32 v1, vcc, v6, v1, vcc
	global_load_dwordx2 v[5:6], v[0:1], off glc
	s_waitcnt vmcnt(0)
	global_atomic_cmpswap_x2 v[0:1], v4, v[5:8], s[48:49] offset:24 glc
	s_waitcnt vmcnt(0)
	buffer_wbinvl1_vol
	v_cmp_ne_u64_e32 vcc, v[0:1], v[7:8]
	s_and_saveexec_b64 s[10:11], vcc
	s_cbranch_execz .LBB7_1711
; %bb.1708:
	s_mov_b64 s[16:17], 0
.LBB7_1709:                             ; =>This Inner Loop Header: Depth=1
	s_sleep 1
	global_load_dwordx2 v[5:6], v4, s[48:49] offset:40
	global_load_dwordx2 v[9:10], v4, s[48:49]
	v_mov_b32_e32 v8, v1
	v_mov_b32_e32 v7, v0
	s_waitcnt vmcnt(1)
	v_and_b32_e32 v0, v5, v7
	s_waitcnt vmcnt(0)
	v_mad_u64_u32 v[0:1], s[18:19], v0, 24, v[9:10]
	v_and_b32_e32 v5, v6, v8
	v_mad_u64_u32 v[5:6], s[18:19], v5, 24, v[1:2]
	v_mov_b32_e32 v1, v5
	global_load_dwordx2 v[5:6], v[0:1], off glc
	s_waitcnt vmcnt(0)
	global_atomic_cmpswap_x2 v[0:1], v4, v[5:8], s[48:49] offset:24 glc
	s_waitcnt vmcnt(0)
	buffer_wbinvl1_vol
	v_cmp_eq_u64_e32 vcc, v[0:1], v[7:8]
	s_or_b64 s[16:17], vcc, s[16:17]
	s_andn2_b64 exec, exec, s[16:17]
	s_cbranch_execnz .LBB7_1709
; %bb.1710:
	s_or_b64 exec, exec, s[16:17]
.LBB7_1711:
	s_or_b64 exec, exec, s[10:11]
.LBB7_1712:
	s_or_b64 exec, exec, s[6:7]
	v_mov_b32_e32 v5, 0
	global_load_dwordx2 v[10:11], v5, s[48:49] offset:40
	global_load_dwordx4 v[6:9], v5, s[48:49]
	v_readfirstlane_b32 s6, v0
	v_readfirstlane_b32 s7, v1
	s_mov_b64 s[10:11], exec
	s_waitcnt vmcnt(1)
	v_readfirstlane_b32 s16, v10
	v_readfirstlane_b32 s17, v11
	s_and_b64 s[16:17], s[6:7], s[16:17]
	s_mul_i32 s15, s17, 24
	s_mul_hi_u32 s18, s16, 24
	s_mul_i32 s19, s16, 24
	s_add_i32 s15, s18, s15
	v_mov_b32_e32 v0, s15
	s_waitcnt vmcnt(0)
	v_add_co_u32_e32 v10, vcc, s19, v6
	v_addc_co_u32_e32 v11, vcc, v7, v0, vcc
	s_and_saveexec_b64 s[18:19], s[4:5]
	s_cbranch_execz .LBB7_1714
; %bb.1713:
	v_mov_b32_e32 v13, s11
	v_mov_b32_e32 v12, s10
	;; [unrolled: 1-line block ×4, first 2 shown]
	global_store_dwordx4 v[10:11], v[12:15], off offset:8
.LBB7_1714:
	s_or_b64 exec, exec, s[18:19]
	s_lshl_b64 s[10:11], s[16:17], 12
	v_mov_b32_e32 v0, s11
	v_add_co_u32_e32 v1, vcc, s10, v8
	v_addc_co_u32_e32 v0, vcc, v9, v0, vcc
	s_movk_i32 s10, 0xff1d
	v_and_or_b32 v2, v2, s10, 34
	s_mov_b32 s16, 0
	v_mov_b32_e32 v4, 10
	v_readfirstlane_b32 s10, v1
	v_readfirstlane_b32 s11, v0
	s_mov_b32 s17, s16
	s_mov_b32 s18, s16
	;; [unrolled: 1-line block ×3, first 2 shown]
	s_nop 1
	global_store_dwordx4 v40, v[2:5], s[10:11]
	v_mov_b32_e32 v0, s16
	v_mov_b32_e32 v1, s17
	;; [unrolled: 1-line block ×4, first 2 shown]
	global_store_dwordx4 v40, v[0:3], s[10:11] offset:16
	global_store_dwordx4 v40, v[0:3], s[10:11] offset:32
	;; [unrolled: 1-line block ×3, first 2 shown]
	s_and_saveexec_b64 s[10:11], s[4:5]
	s_cbranch_execz .LBB7_1722
; %bb.1715:
	v_mov_b32_e32 v8, 0
	global_load_dwordx2 v[14:15], v8, s[48:49] offset:32 glc
	global_load_dwordx2 v[0:1], v8, s[48:49] offset:40
	v_mov_b32_e32 v12, s6
	v_mov_b32_e32 v13, s7
	s_waitcnt vmcnt(0)
	v_readfirstlane_b32 s16, v0
	v_readfirstlane_b32 s17, v1
	s_and_b64 s[16:17], s[16:17], s[6:7]
	s_mul_i32 s15, s17, 24
	s_mul_hi_u32 s17, s16, 24
	s_mul_i32 s16, s16, 24
	s_add_i32 s15, s17, s15
	v_mov_b32_e32 v0, s15
	v_add_co_u32_e32 v4, vcc, s16, v6
	v_addc_co_u32_e32 v5, vcc, v7, v0, vcc
	global_store_dwordx2 v[4:5], v[14:15], off
	s_waitcnt vmcnt(0)
	global_atomic_cmpswap_x2 v[2:3], v8, v[12:15], s[48:49] offset:32 glc
	s_waitcnt vmcnt(0)
	v_cmp_ne_u64_e32 vcc, v[2:3], v[14:15]
	s_and_saveexec_b64 s[16:17], vcc
	s_cbranch_execz .LBB7_1718
; %bb.1716:
	s_mov_b64 s[18:19], 0
.LBB7_1717:                             ; =>This Inner Loop Header: Depth=1
	s_sleep 1
	global_store_dwordx2 v[4:5], v[2:3], off
	v_mov_b32_e32 v0, s6
	v_mov_b32_e32 v1, s7
	s_waitcnt vmcnt(0)
	global_atomic_cmpswap_x2 v[0:1], v8, v[0:3], s[48:49] offset:32 glc
	s_waitcnt vmcnt(0)
	v_cmp_eq_u64_e32 vcc, v[0:1], v[2:3]
	v_mov_b32_e32 v3, v1
	s_or_b64 s[18:19], vcc, s[18:19]
	v_mov_b32_e32 v2, v0
	s_andn2_b64 exec, exec, s[18:19]
	s_cbranch_execnz .LBB7_1717
.LBB7_1718:
	s_or_b64 exec, exec, s[16:17]
	v_mov_b32_e32 v3, 0
	global_load_dwordx2 v[0:1], v3, s[48:49] offset:16
	s_mov_b64 s[16:17], exec
	v_mbcnt_lo_u32_b32 v2, s16, 0
	v_mbcnt_hi_u32_b32 v2, s17, v2
	v_cmp_eq_u32_e32 vcc, 0, v2
	s_and_saveexec_b64 s[18:19], vcc
	s_cbranch_execz .LBB7_1720
; %bb.1719:
	s_bcnt1_i32_b64 s15, s[16:17]
	v_mov_b32_e32 v2, s15
	s_waitcnt vmcnt(0)
	global_atomic_add_x2 v[0:1], v[2:3], off offset:8
.LBB7_1720:
	s_or_b64 exec, exec, s[18:19]
	s_waitcnt vmcnt(0)
	global_load_dwordx2 v[2:3], v[0:1], off offset:16
	s_waitcnt vmcnt(0)
	v_cmp_eq_u64_e32 vcc, 0, v[2:3]
	s_cbranch_vccnz .LBB7_1722
; %bb.1721:
	global_load_dword v0, v[0:1], off offset:24
	v_mov_b32_e32 v1, 0
	s_waitcnt vmcnt(0)
	global_store_dwordx2 v[2:3], v[0:1], off
	v_and_b32_e32 v0, 0xffffff, v0
	v_readfirstlane_b32 m0, v0
	s_sendmsg sendmsg(MSG_INTERRUPT)
.LBB7_1722:
	s_or_b64 exec, exec, s[10:11]
	s_branch .LBB7_1726
.LBB7_1723:                             ;   in Loop: Header=BB7_1726 Depth=1
	s_or_b64 exec, exec, s[10:11]
	v_readfirstlane_b32 s10, v0
	s_cmp_eq_u32 s10, 0
	s_cbranch_scc1 .LBB7_1725
; %bb.1724:                             ;   in Loop: Header=BB7_1726 Depth=1
	s_sleep 1
	s_cbranch_execnz .LBB7_1726
	s_branch .LBB7_1728
.LBB7_1725:
	s_branch .LBB7_1728
.LBB7_1726:                             ; =>This Inner Loop Header: Depth=1
	v_mov_b32_e32 v0, 1
	s_and_saveexec_b64 s[10:11], s[4:5]
	s_cbranch_execz .LBB7_1723
; %bb.1727:                             ;   in Loop: Header=BB7_1726 Depth=1
	global_load_dword v0, v[10:11], off offset:20 glc
	s_waitcnt vmcnt(0)
	buffer_wbinvl1_vol
	v_and_b32_e32 v0, 1, v0
	s_branch .LBB7_1723
.LBB7_1728:
	s_and_saveexec_b64 s[10:11], s[4:5]
	s_cbranch_execz .LBB7_1731
; %bb.1729:
	v_mov_b32_e32 v6, 0
	global_load_dwordx2 v[2:3], v6, s[48:49] offset:40
	global_load_dwordx2 v[7:8], v6, s[48:49] offset:24 glc
	global_load_dwordx2 v[4:5], v6, s[48:49]
	v_mov_b32_e32 v1, s7
	s_mov_b64 s[4:5], 0
	s_waitcnt vmcnt(2)
	v_add_co_u32_e32 v9, vcc, 1, v2
	v_addc_co_u32_e32 v10, vcc, 0, v3, vcc
	v_add_co_u32_e32 v0, vcc, s6, v9
	v_addc_co_u32_e32 v1, vcc, v10, v1, vcc
	v_cmp_eq_u64_e32 vcc, 0, v[0:1]
	v_cndmask_b32_e32 v1, v1, v10, vcc
	v_cndmask_b32_e32 v0, v0, v9, vcc
	v_and_b32_e32 v3, v1, v3
	v_and_b32_e32 v2, v0, v2
	v_mul_lo_u32 v3, v3, 24
	v_mul_hi_u32 v9, v2, 24
	v_mul_lo_u32 v10, v2, 24
	s_waitcnt vmcnt(1)
	v_mov_b32_e32 v2, v7
	v_add_u32_e32 v3, v9, v3
	s_waitcnt vmcnt(0)
	v_add_co_u32_e32 v4, vcc, v4, v10
	v_addc_co_u32_e32 v5, vcc, v5, v3, vcc
	global_store_dwordx2 v[4:5], v[7:8], off
	v_mov_b32_e32 v3, v8
	s_waitcnt vmcnt(0)
	global_atomic_cmpswap_x2 v[2:3], v6, v[0:3], s[48:49] offset:24 glc
	s_waitcnt vmcnt(0)
	v_cmp_ne_u64_e32 vcc, v[2:3], v[7:8]
	s_and_b64 exec, exec, vcc
	s_cbranch_execz .LBB7_1731
.LBB7_1730:                             ; =>This Inner Loop Header: Depth=1
	s_sleep 1
	global_store_dwordx2 v[4:5], v[2:3], off
	s_waitcnt vmcnt(0)
	global_atomic_cmpswap_x2 v[7:8], v6, v[0:3], s[48:49] offset:24 glc
	s_waitcnt vmcnt(0)
	v_cmp_eq_u64_e32 vcc, v[7:8], v[2:3]
	v_mov_b32_e32 v2, v7
	s_or_b64 s[4:5], vcc, s[4:5]
	v_mov_b32_e32 v3, v8
	s_andn2_b64 exec, exec, s[4:5]
	s_cbranch_execnz .LBB7_1730
.LBB7_1731:
	s_or_b64 exec, exec, s[10:11]
	flat_load_dwordx2 v[0:1], v[42:43]
	s_waitcnt vmcnt(0) lgkmcnt(0)
	flat_load_dword v2, v[0:1]
	s_waitcnt vmcnt(0) lgkmcnt(0)
	v_add_u32_e32 v2, 1, v2
	flat_store_dword v[0:1], v2
.LBB7_1732:
	s_or_b64 exec, exec, s[46:47]
	s_getpc_b64 s[4:5]
	s_add_u32 s4, s4, _ZN8migraphx4test4failEv@rel32@lo+4
	s_addc_u32 s5, s5, _ZN8migraphx4test4failEv@rel32@hi+12
	s_swappc_b64 s[30:31], s[4:5]
	; divergent unreachable
.LBB7_1733:
	s_or_b64 exec, exec, s[44:45]
	v_readlane_b32 s30, v45, 0
	v_readlane_b32 s31, v45, 1
	v_readlane_b32 s4, v45, 2
	s_or_saveexec_b64 s[6:7], -1
	buffer_load_dword v45, off, s[0:3], s33 ; 4-byte Folded Reload
	s_mov_b64 exec, s[6:7]
	s_addk_i32 s32, 0xfc00
	s_mov_b32 s33, s4
	s_waitcnt vmcnt(0)
	s_setpc_b64 s[30:31]
.Lfunc_end7:
	.size	_ZN8migraphx4test12test_manager6failedINS0_10expressionINS0_14lhs_expressionIRNS_5arrayIiLj3EEENS0_3nopEEES7_NS0_5equalEEEPFvvEEEvRKT_PKcSI_SI_iT0_, .Lfunc_end7-_ZN8migraphx4test12test_manager6failedINS0_10expressionINS0_14lhs_expressionIRNS_5arrayIiLj3EEENS0_3nopEEES7_NS0_5equalEEEPFvvEEEvRKT_PKcSI_SI_iT0_
                                        ; -- End function
	.section	.AMDGPU.csdata,"",@progbits
; Function info:
; codeLenInByte = 59800
; NumSgprs: 60
; NumVgprs: 56
; ScratchSize: 32
; MemoryBound: 0
	.text
	.protected	gpu_test_kernel         ; -- Begin function gpu_test_kernel
	.globl	gpu_test_kernel
	.p2align	8
	.type	gpu_test_kernel,@function
gpu_test_kernel:                        ; @gpu_test_kernel
; %bb.0:
	s_mov_b64 s[56:57], s[4:5]
	s_load_dwordx2 s[4:5], s[4:5], 0x8
	s_add_u32 flat_scratch_lo, s6, s11
	s_load_dword s61, s[56:57], 0x0
	s_addc_u32 flat_scratch_hi, s7, 0
	s_add_u32 s0, s0, s11
	s_addc_u32 s1, s1, 0
	v_mov_b32_e32 v46, v0
	s_waitcnt lgkmcnt(0)
	v_mov_b32_e32 v0, s5
	buffer_store_dword v0, off, s[0:3], 0 offset:60
	v_mov_b32_e32 v0, s4
	s_mov_b32 s58, s10
	s_mov_b32 s59, s9
	;; [unrolled: 1-line block ×3, first 2 shown]
	s_mov_b64 s[62:63], src_private_base
	s_cmp_lt_i32 s61, 4
	s_mov_b64 s[4:5], -1
	s_movk_i32 s32, 0x1400
	buffer_store_dword v0, off, s[0:3], 0 offset:56
	s_cbranch_scc1 .LBB8_8
; %bb.1:
	s_cmp_lt_i32 s61, 5
	s_cbranch_scc1 .LBB8_5
; %bb.2:
	s_cmp_eq_u32 s61, 5
	s_cbranch_scc0 .LBB8_4
; %bb.3:
	s_add_u32 s8, s56, 16
	v_mov_b32_e32 v0, 2
	v_mov_b32_e32 v1, 4
	;; [unrolled: 1-line block ×3, first 2 shown]
	s_mov_b64 s[4:5], src_private_base
	s_addc_u32 s9, s57, 0
	buffer_store_dword v0, off, s[0:3], 0 offset:40
	buffer_store_dword v1, off, s[0:3], 0 offset:44
	;; [unrolled: 1-line block ×3, first 2 shown]
	buffer_store_dword v0, off, s[0:3], 0
	buffer_store_dword v1, off, s[0:3], 0 offset:4
	buffer_store_dword v2, off, s[0:3], 0 offset:8
	v_mov_b32_e32 v0, s5
	v_mov_b32_e32 v1, 40
	s_getpc_b64 s[6:7]
	s_add_u32 s6, s6, .str@rel32@lo+4
	s_addc_u32 s7, s7, .str@rel32@hi+12
	buffer_store_dword v0, off, s[0:3], 0 offset:20
	buffer_store_dword v1, off, s[0:3], 0 offset:16
	;; [unrolled: 1-line block ×3, first 2 shown]
	v_mov_b32_e32 v0, 0
	s_getpc_b64 s[10:11]
	s_add_u32 s10, s10, __PRETTY_FUNCTION__._ZL17copy_if_all_matchRN8migraphx4test12test_managerE@rel32@lo+4
	s_addc_u32 s11, s11, __PRETTY_FUNCTION__._ZL17copy_if_all_matchRN8migraphx4test12test_managerE@rel32@hi+12
	buffer_store_dword v0, off, s[0:3], 0 offset:24
	s_mov_b32 s12, s60
	s_mov_b32 s13, s59
	;; [unrolled: 1-line block ×3, first 2 shown]
	v_mov_b32_e32 v31, v46
	v_mov_b32_e32 v0, 56
	;; [unrolled: 1-line block ×10, first 2 shown]
	s_getpc_b64 s[16:17]
	s_add_u32 s16, s16, _ZN8migraphx4test12test_manager6failedINS0_10expressionINS0_14lhs_expressionIRNS_5arrayIiLj3EEENS0_3nopEEES7_NS0_5equalEEEPFvvEEEvRKT_PKcSI_SI_iT0_@rel32@lo+4
	s_addc_u32 s17, s17, _ZN8migraphx4test12test_manager6failedINS0_10expressionINS0_14lhs_expressionIRNS_5arrayIiLj3EEENS0_3nopEEES7_NS0_5equalEEEPFvvEEEvRKT_PKcSI_SI_iT0_@rel32@hi+12
	s_swappc_b64 s[30:31], s[16:17]
.LBB8_4:
	s_mov_b64 s[4:5], 0
.LBB8_5:
	s_andn2_b64 vcc, exec, s[4:5]
	s_cbranch_vccnz .LBB8_7
; %bb.6:
	s_add_u32 s8, s56, 16
	v_mov_b32_e32 v0, 0
	s_mov_b64 s[4:5], src_private_base
	s_addc_u32 s9, s57, 0
	buffer_store_dword v0, off, s[0:3], 0 offset:40
	buffer_store_dword v0, off, s[0:3], 0 offset:44
	;; [unrolled: 1-line block ×3, first 2 shown]
	buffer_store_dword v0, off, s[0:3], 0
	buffer_store_dword v0, off, s[0:3], 0 offset:4
	buffer_store_dword v0, off, s[0:3], 0 offset:8
	v_mov_b32_e32 v0, s5
	v_mov_b32_e32 v1, 40
	s_getpc_b64 s[6:7]
	s_add_u32 s6, s6, .str.13@rel32@lo+4
	s_addc_u32 s7, s7, .str.13@rel32@hi+12
	buffer_store_dword v0, off, s[0:3], 0 offset:20
	buffer_store_dword v1, off, s[0:3], 0 offset:16
	;; [unrolled: 1-line block ×3, first 2 shown]
	v_mov_b32_e32 v0, 0
	s_getpc_b64 s[10:11]
	s_add_u32 s10, s10, __PRETTY_FUNCTION__._ZL18copy_if_none_matchRN8migraphx4test12test_managerE@rel32@lo+4
	s_addc_u32 s11, s11, __PRETTY_FUNCTION__._ZL18copy_if_none_matchRN8migraphx4test12test_managerE@rel32@hi+12
	buffer_store_dword v0, off, s[0:3], 0 offset:24
	s_mov_b32 s12, s60
	s_mov_b32 s13, s59
	;; [unrolled: 1-line block ×3, first 2 shown]
	v_mov_b32_e32 v31, v46
	v_mov_b32_e32 v0, 56
	;; [unrolled: 1-line block ×10, first 2 shown]
	s_getpc_b64 s[16:17]
	s_add_u32 s16, s16, _ZN8migraphx4test12test_manager6failedINS0_10expressionINS0_14lhs_expressionIRNS_5arrayIiLj3EEENS0_3nopEEES7_NS0_5equalEEEPFvvEEEvRKT_PKcSI_SI_iT0_@rel32@lo+4
	s_addc_u32 s17, s17, _ZN8migraphx4test12test_manager6failedINS0_10expressionINS0_14lhs_expressionIRNS_5arrayIiLj3EEENS0_3nopEEES7_NS0_5equalEEEPFvvEEEvRKT_PKcSI_SI_iT0_@rel32@hi+12
	s_swappc_b64 s[30:31], s[16:17]
.LBB8_7:
	s_mov_b64 s[4:5], 0
.LBB8_8:
	s_andn2_b64 vcc, exec, s[4:5]
	s_cbranch_vccnz .LBB8_11
; %bb.9:
	s_cmp_lg_u32 s61, 3
	s_cbranch_scc1 .LBB8_11
; %bb.10:
	v_mov_b32_e32 v1, 0
	s_mov_b64 s[64:65], src_private_base
	s_add_u32 s4, 16, 4
	v_mov_b32_e32 v0, 16
	buffer_store_dword v1, off, s[0:3], 0 offset:28
	buffer_store_dword v1, off, s[0:3], 0 offset:32
	;; [unrolled: 1-line block ×3, first 2 shown]
	v_mov_b32_e32 v1, 2
	s_addc_u32 s5, s65, 0
	v_add_u32_e32 v0, 12, v0
	buffer_store_dword v1, off, s[0:3], 0 offset:16
	v_mov_b32_e32 v1, 4
	v_mov_b32_e32 v42, 6
	;; [unrolled: 1-line block ×3, first 2 shown]
	s_add_u32 s54, s56, 16
	buffer_store_dword v1, off, s[0:3], 0 offset:20
	buffer_store_dword v42, off, s[0:3], 0 offset:24
	buffer_store_dword v43, off, s[0:3], 0 offset:4
	buffer_store_dword v0, off, s[0:3], 0
	v_mov_b32_e32 v0, s5
	s_addc_u32 s55, s57, 0
	buffer_store_dword v0, off, s[0:3], 0 offset:44
	v_mov_b32_e32 v0, s4
	s_getpc_b64 s[4:5]
	s_add_u32 s4, s4, .str.17@rel32@lo+4
	s_addc_u32 s5, s5, .str.17@rel32@hi+12
	buffer_store_dword v0, off, s[0:3], 0 offset:40
	buffer_store_dword v1, off, s[0:3], 0 offset:48
	s_mov_b64 s[8:9], s[54:55]
	s_mov_b32 s12, s60
	s_mov_b32 s13, s59
	;; [unrolled: 1-line block ×3, first 2 shown]
	v_mov_b32_e32 v31, v46
	v_mov_b32_e32 v0, 56
	;; [unrolled: 1-line block ×8, first 2 shown]
	s_getpc_b64 s[56:57]
	s_add_u32 s56, s56, _ZN8migraphx4test12test_manager6failedINS0_10expressionINS0_14lhs_expressionIRiNS0_3nopEEEiNS0_5equalEEEPFvvEEEvRKT_PKcSG_SG_iT0_@rel32@lo+4
	s_addc_u32 s57, s57, _ZN8migraphx4test12test_manager6failedINS0_10expressionINS0_14lhs_expressionIRiNS0_3nopEEEiNS0_5equalEEEPFvvEEEvRKT_PKcSG_SG_iT0_@rel32@hi+12
	s_swappc_b64 s[30:31], s[56:57]
	s_add_u32 s4, 16, 8
	s_addc_u32 s5, s65, 0
	v_mov_b32_e32 v0, s5
	buffer_store_dword v0, off, s[0:3], 0 offset:44
	v_mov_b32_e32 v0, s4
	s_getpc_b64 s[4:5]
	s_add_u32 s4, s4, .str.18@rel32@lo+4
	s_addc_u32 s5, s5, .str.18@rel32@hi+12
	buffer_store_dword v0, off, s[0:3], 0 offset:40
	buffer_store_dword v42, off, s[0:3], 0 offset:48
	s_mov_b64 s[8:9], s[54:55]
	s_mov_b32 s12, s60
	s_mov_b32 s13, s59
	;; [unrolled: 1-line block ×3, first 2 shown]
	v_mov_b32_e32 v31, v46
	v_mov_b32_e32 v0, 56
	;; [unrolled: 1-line block ×8, first 2 shown]
	s_swappc_b64 s[30:31], s[56:57]
	s_add_u32 s4, 16, 12
	s_addc_u32 s5, s65, 0
	v_mov_b32_e32 v0, 0
	buffer_store_dword v0, off, s[0:3], 0 offset:40
	v_mov_b32_e32 v0, s5
	buffer_store_dword v0, off, s[0:3], 0 offset:52
	v_mov_b32_e32 v0, s4
	s_getpc_b64 s[4:5]
	s_add_u32 s4, s4, .str.19@rel32@lo+4
	s_addc_u32 s5, s5, .str.19@rel32@hi+12
	s_getpc_b64 s[6:7]
	s_add_u32 s6, s6, __PRETTY_FUNCTION__._ZL13copy_if_basicRN8migraphx4test12test_managerE@rel32@lo+4
	s_addc_u32 s7, s7, __PRETTY_FUNCTION__._ZL13copy_if_basicRN8migraphx4test12test_managerE@rel32@hi+12
	buffer_store_dword v0, off, s[0:3], 0 offset:48
	s_mov_b64 s[8:9], s[54:55]
	s_mov_b32 s12, s60
	s_mov_b32 s13, s59
	;; [unrolled: 1-line block ×3, first 2 shown]
	v_mov_b32_e32 v31, v46
	v_mov_b32_e32 v0, 56
	;; [unrolled: 1-line block ×10, first 2 shown]
	buffer_store_dword v43, off, s[0:3], 0 offset:44
	s_getpc_b64 s[10:11]
	s_add_u32 s10, s10, _ZN8migraphx4test12test_manager6failedINS0_10expressionINS0_14lhs_expressionIRPiNS0_3nopEEES5_NS0_5equalEEEPFvvEEEvRKT_PKcSH_SH_iT0_@rel32@lo+4
	s_addc_u32 s11, s11, _ZN8migraphx4test12test_manager6failedINS0_10expressionINS0_14lhs_expressionIRPiNS0_3nopEEES5_NS0_5equalEEEPFvvEEEvRKT_PKcSH_SH_iT0_@rel32@hi+12
	s_swappc_b64 s[30:31], s[10:11]
.LBB8_11:
	s_endpgm
	.section	.rodata,"a",@progbits
	.p2align	6, 0x0
	.amdhsa_kernel gpu_test_kernel
		.amdhsa_group_segment_fixed_size 0
		.amdhsa_private_segment_fixed_size 112
		.amdhsa_kernarg_size 272
		.amdhsa_user_sgpr_count 8
		.amdhsa_user_sgpr_private_segment_buffer 1
		.amdhsa_user_sgpr_dispatch_ptr 0
		.amdhsa_user_sgpr_queue_ptr 0
		.amdhsa_user_sgpr_kernarg_segment_ptr 1
		.amdhsa_user_sgpr_dispatch_id 0
		.amdhsa_user_sgpr_flat_scratch_init 1
		.amdhsa_user_sgpr_private_segment_size 0
		.amdhsa_uses_dynamic_stack 0
		.amdhsa_system_sgpr_private_segment_wavefront_offset 1
		.amdhsa_system_sgpr_workgroup_id_x 1
		.amdhsa_system_sgpr_workgroup_id_y 1
		.amdhsa_system_sgpr_workgroup_id_z 1
		.amdhsa_system_sgpr_workgroup_info 0
		.amdhsa_system_vgpr_workitem_id 0
		.amdhsa_next_free_vgpr 56
		.amdhsa_next_free_sgpr 66
		.amdhsa_reserve_vcc 1
		.amdhsa_reserve_flat_scratch 1
		.amdhsa_float_round_mode_32 0
		.amdhsa_float_round_mode_16_64 0
		.amdhsa_float_denorm_mode_32 3
		.amdhsa_float_denorm_mode_16_64 3
		.amdhsa_dx10_clamp 1
		.amdhsa_ieee_mode 1
		.amdhsa_fp16_overflow 0
		.amdhsa_exception_fp_ieee_invalid_op 0
		.amdhsa_exception_fp_denorm_src 0
		.amdhsa_exception_fp_ieee_div_zero 0
		.amdhsa_exception_fp_ieee_overflow 0
		.amdhsa_exception_fp_ieee_underflow 0
		.amdhsa_exception_fp_ieee_inexact 0
		.amdhsa_exception_int_div_zero 0
	.end_amdhsa_kernel
	.text
.Lfunc_end8:
	.size	gpu_test_kernel, .Lfunc_end8-gpu_test_kernel
                                        ; -- End function
	.section	.AMDGPU.csdata,"",@progbits
; Kernel info:
; codeLenInByte = 1148
; NumSgprs: 72
; NumVgprs: 56
; ScratchSize: 112
; MemoryBound: 0
; FloatMode: 240
; IeeeMode: 1
; LDSByteSize: 0 bytes/workgroup (compile time only)
; SGPRBlocks: 8
; VGPRBlocks: 13
; NumSGPRsForWavesPerEU: 72
; NumVGPRsForWavesPerEU: 56
; Occupancy: 4
; WaveLimiterHint : 1
; COMPUTE_PGM_RSRC2:SCRATCH_EN: 1
; COMPUTE_PGM_RSRC2:USER_SGPR: 8
; COMPUTE_PGM_RSRC2:TRAP_HANDLER: 0
; COMPUTE_PGM_RSRC2:TGID_X_EN: 1
; COMPUTE_PGM_RSRC2:TGID_Y_EN: 1
; COMPUTE_PGM_RSRC2:TGID_Z_EN: 1
; COMPUTE_PGM_RSRC2:TIDIG_COMP_CNT: 0
	.type	.str,@object                    ; @.str
	.section	.rodata.str1.1,"aMS",@progbits,1
.str:
	.asciz	"src == dst"
	.size	.str, 11

	.type	.str.1,@object                  ; @.str.1
.str.1:
	.asciz	"/root/src/amdgpu-assembly/repos/ROCm__AMDMIGraphX/_shim/test_algorithm_02_shim.cpp"
	.size	.str.1, 83

	.type	.str.2,@object                  ; @.str.2
.str.2:
	.asciz	"    FAILED: "
	.size	.str.2, 13

	.type	.str.3,@object                  ; @.str.3
.str.3:
	.asciz	" [ "
	.size	.str.3, 4

	.type	.str.4,@object                  ; @.str.4
.str.4:
	.asciz	" ]"
	.size	.str.4, 3

	.type	.str.5,@object                  ; @.str.5
.str.5:
	.asciz	"%s"
	.size	.str.5, 3

	.type	.str.6,@object                  ; @.str.6
.str.6:
	.asciz	"%c"
	.size	.str.6, 3

	.type	.str.7,@object                  ; @.str.7
.str.7:
	.asciz	"%li"
	.size	.str.7, 4

	.type	.str.8,@object                  ; @.str.8
.str.8:
	.asciz	" "
	.size	.str.8, 2

	.type	.str.10,@object                 ; @.str.10
.str.10:
	.asciz	"=="
	.size	.str.10, 3

	.type	.str.11,@object                 ; @.str.11
.str.11:
	.asciz	", "
	.size	.str.11, 3

	.type	.str.13,@object                 ; @.str.13
.str.13:
	.asciz	"dst == expected"
	.size	.str.13, 16

	.type	.str.14,@object                 ; @.str.14
.str.14:
	.asciz	"true"
	.size	.str.14, 5

	.type	.str.15,@object                 ; @.str.15
.str.15:
	.asciz	"false"
	.size	.str.15, 6

	.type	__PRETTY_FUNCTION__._ZL13copy_if_basicRN8migraphx4test12test_managerE,@object ; @__PRETTY_FUNCTION__._ZL13copy_if_basicRN8migraphx4test12test_managerE
__PRETTY_FUNCTION__._ZL13copy_if_basicRN8migraphx4test12test_managerE:
	.asciz	"void copy_if_basic(migraphx::test::test_manager &)"
	.size	__PRETTY_FUNCTION__._ZL13copy_if_basicRN8migraphx4test12test_managerE, 51

	.type	.str.17,@object                 ; @.str.17
.str.17:
	.asciz	"dst[1] == 4"
	.size	.str.17, 12

	.type	.str.18,@object                 ; @.str.18
.str.18:
	.asciz	"dst[2] == 6"
	.size	.str.18, 12

	.type	.str.19,@object                 ; @.str.19
.str.19:
	.asciz	"end_it == dst.begin() + 3"
	.size	.str.19, 26

	.type	__PRETTY_FUNCTION__._ZL18copy_if_none_matchRN8migraphx4test12test_managerE,@object ; @__PRETTY_FUNCTION__._ZL18copy_if_none_matchRN8migraphx4test12test_managerE
__PRETTY_FUNCTION__._ZL18copy_if_none_matchRN8migraphx4test12test_managerE:
	.asciz	"void copy_if_none_match(migraphx::test::test_manager &)"
	.size	__PRETTY_FUNCTION__._ZL18copy_if_none_matchRN8migraphx4test12test_managerE, 56

	.type	__PRETTY_FUNCTION__._ZL17copy_if_all_matchRN8migraphx4test12test_managerE,@object ; @__PRETTY_FUNCTION__._ZL17copy_if_all_matchRN8migraphx4test12test_managerE
__PRETTY_FUNCTION__._ZL17copy_if_all_matchRN8migraphx4test12test_managerE:
	.asciz	"void copy_if_all_match(migraphx::test::test_manager &)"
	.size	__PRETTY_FUNCTION__._ZL17copy_if_all_matchRN8migraphx4test12test_managerE, 55

	.type	__hip_cuid_b130b96b418293a8,@object ; @__hip_cuid_b130b96b418293a8
	.section	.bss,"aw",@nobits
	.globl	__hip_cuid_b130b96b418293a8
__hip_cuid_b130b96b418293a8:
	.byte	0                               ; 0x0
	.size	__hip_cuid_b130b96b418293a8, 1

	.ident	"AMD clang version 19.0.0git (https://github.com/RadeonOpenCompute/llvm-project roc-6.4.0 25133 c7fe45cf4b819c5991fe208aaa96edf142730f1d)"
	.section	".note.GNU-stack","",@progbits
	.addrsig
	.addrsig_sym __hip_cuid_b130b96b418293a8
	.amdgpu_metadata
---
amdhsa.kernels:
  - .args:
      - .offset:         0
        .size:           4
        .value_kind:     by_value
      - .address_space:  global
        .offset:         8
        .size:           8
        .value_kind:     global_buffer
      - .offset:         16
        .size:           4
        .value_kind:     hidden_block_count_x
      - .offset:         20
        .size:           4
        .value_kind:     hidden_block_count_y
      - .offset:         24
        .size:           4
        .value_kind:     hidden_block_count_z
      - .offset:         28
        .size:           2
        .value_kind:     hidden_group_size_x
      - .offset:         30
        .size:           2
        .value_kind:     hidden_group_size_y
      - .offset:         32
        .size:           2
        .value_kind:     hidden_group_size_z
      - .offset:         34
        .size:           2
        .value_kind:     hidden_remainder_x
      - .offset:         36
        .size:           2
        .value_kind:     hidden_remainder_y
      - .offset:         38
        .size:           2
        .value_kind:     hidden_remainder_z
      - .offset:         56
        .size:           8
        .value_kind:     hidden_global_offset_x
      - .offset:         64
        .size:           8
        .value_kind:     hidden_global_offset_y
      - .offset:         72
        .size:           8
        .value_kind:     hidden_global_offset_z
      - .offset:         80
        .size:           2
        .value_kind:     hidden_grid_dims
      - .offset:         96
        .size:           8
        .value_kind:     hidden_hostcall_buffer
    .group_segment_fixed_size: 0
    .kernarg_segment_align: 8
    .kernarg_segment_size: 272
    .language:       OpenCL C
    .language_version:
      - 2
      - 0
    .max_flat_workgroup_size: 1024
    .name:           gpu_test_kernel
    .private_segment_fixed_size: 112
    .sgpr_count:     72
    .sgpr_spill_count: 0
    .symbol:         gpu_test_kernel.kd
    .uniform_work_group_size: 1
    .uses_dynamic_stack: false
    .vgpr_count:     56
    .vgpr_spill_count: 0
    .wavefront_size: 64
amdhsa.target:   amdgcn-amd-amdhsa--gfx906
amdhsa.version:
  - 1
  - 2
...

	.end_amdgpu_metadata
